;; amdgpu-corpus repo=vllm-project/vllm kind=compiled arch=gfx1100 opt=O3
	.text
	.amdgcn_target "amdgcn-amd-amdhsa--gfx1100"
	.amdhsa_code_object_version 6
	.section	.text._ZN4vllm35silu_and_mul_per_block_quant_kernelIfN3c1013Float8_e4m3fnELb1ELi128EEEvPT0_PfPKT_PKfi,"axG",@progbits,_ZN4vllm35silu_and_mul_per_block_quant_kernelIfN3c1013Float8_e4m3fnELb1ELi128EEEvPT0_PfPKT_PKfi,comdat
	.protected	_ZN4vllm35silu_and_mul_per_block_quant_kernelIfN3c1013Float8_e4m3fnELb1ELi128EEEvPT0_PfPKT_PKfi ; -- Begin function _ZN4vllm35silu_and_mul_per_block_quant_kernelIfN3c1013Float8_e4m3fnELb1ELi128EEEvPT0_PfPKT_PKfi
	.globl	_ZN4vllm35silu_and_mul_per_block_quant_kernelIfN3c1013Float8_e4m3fnELb1ELi128EEEvPT0_PfPKT_PKfi
	.p2align	8
	.type	_ZN4vllm35silu_and_mul_per_block_quant_kernelIfN3c1013Float8_e4m3fnELb1ELi128EEEvPT0_PfPKT_PKfi,@function
_ZN4vllm35silu_and_mul_per_block_quant_kernelIfN3c1013Float8_e4m3fnELb1ELi128EEEvPT0_PfPKT_PKfi: ; @_ZN4vllm35silu_and_mul_per_block_quant_kernelIfN3c1013Float8_e4m3fnELb1ELi128EEEvPT0_PfPKT_PKfi
; %bb.0:
	s_clause 0x2
	s_load_b32 s6, s[0:1], 0x20
	s_load_b64 s[8:9], s[0:1], 0x10
	s_load_b32 s3, s[0:1], 0x28
	v_lshlrev_b32_e32 v2, 2, v0
	s_mov_b32 s2, s15
	s_waitcnt lgkmcnt(0)
	s_mul_i32 s4, s14, s6
	s_ashr_i32 s7, s6, 31
	s_lshl_b32 s10, s4, 1
	s_lshl_b32 s4, s15, 7
	s_ashr_i32 s11, s10, 31
	s_delay_alu instid0(SALU_CYCLE_1) | instskip(NEXT) | instid1(SALU_CYCLE_1)
	s_lshl_b64 s[10:11], s[10:11], 2
	s_add_u32 s10, s8, s10
	s_addc_u32 s11, s9, s11
	s_ashr_i32 s5, s4, 31
	s_delay_alu instid0(SALU_CYCLE_1) | instskip(NEXT) | instid1(SALU_CYCLE_1)
	s_lshl_b64 s[8:9], s[4:5], 2
	s_add_u32 s8, s10, s8
	s_addc_u32 s9, s11, s9
	s_lshl_b64 s[10:11], s[6:7], 2
	global_load_b32 v1, v2, s[8:9]
	s_add_u32 s8, s8, s10
	s_addc_u32 s9, s9, s11
	s_mov_b32 s7, exec_lo
	s_waitcnt vmcnt(0)
	v_mul_f32_e32 v4, 0xbfb8aa3b, v1
	v_cmp_nlt_f32_e32 vcc_lo, 0x42ce8ed0, v1
	s_delay_alu instid0(VALU_DEP_2) | instskip(SKIP_1) | instid1(VALU_DEP_2)
	v_fma_f32 v5, 0xbfb8aa3b, v1, -v4
	v_rndne_f32_e32 v6, v4
	v_fmamk_f32 v5, v1, 0xb2a5705f, v5
	global_load_b32 v3, v2, s[8:9]
	v_sub_f32_e32 v4, v4, v6
	s_delay_alu instid0(VALU_DEP_1) | instskip(SKIP_1) | instid1(VALU_DEP_2)
	v_add_f32_e32 v4, v4, v5
	v_cvt_i32_f32_e32 v5, v6
	v_exp_f32_e32 v4, v4
	s_waitcnt_depctr 0xfff
	v_ldexp_f32 v4, v4, v5
	s_delay_alu instid0(VALU_DEP_1) | instskip(SKIP_1) | instid1(VALU_DEP_2)
	v_cndmask_b32_e32 v4, 0, v4, vcc_lo
	v_cmp_ngt_f32_e32 vcc_lo, 0xc2b17218, v1
	v_cndmask_b32_e32 v4, 0x7f800000, v4, vcc_lo
	s_delay_alu instid0(VALU_DEP_1) | instskip(NEXT) | instid1(VALU_DEP_1)
	v_add_f32_e32 v4, 1.0, v4
	v_div_scale_f32 v5, null, v4, v4, 1.0
	v_div_scale_f32 v8, vcc_lo, 1.0, v4, 1.0
	s_delay_alu instid0(VALU_DEP_2) | instskip(SKIP_2) | instid1(VALU_DEP_1)
	v_rcp_f32_e32 v6, v5
	s_waitcnt_depctr 0xfff
	v_fma_f32 v7, -v5, v6, 1.0
	v_fmac_f32_e32 v6, v7, v6
	s_delay_alu instid0(VALU_DEP_1) | instskip(NEXT) | instid1(VALU_DEP_1)
	v_mul_f32_e32 v7, v8, v6
	v_fma_f32 v9, -v5, v7, v8
	s_delay_alu instid0(VALU_DEP_1) | instskip(NEXT) | instid1(VALU_DEP_1)
	v_fmac_f32_e32 v7, v9, v6
	v_fma_f32 v5, -v5, v7, v8
	s_delay_alu instid0(VALU_DEP_1) | instskip(NEXT) | instid1(VALU_DEP_1)
	v_div_fmas_f32 v5, v5, v6, v7
	v_div_fixup_f32 v4, v5, v4, 1.0
	s_delay_alu instid0(VALU_DEP_1) | instskip(SKIP_1) | instid1(VALU_DEP_1)
	v_mul_f32_e32 v1, v1, v4
	s_waitcnt vmcnt(0)
	v_mul_f32_e32 v1, v3, v1
	s_delay_alu instid0(VALU_DEP_1)
	v_and_b32_e32 v3, 0x7fffffff, v1
	ds_store_b32 v2, v3
	s_waitcnt lgkmcnt(0)
	s_barrier
	buffer_gl0_inv
	v_cmpx_gt_u32_e32 64, v0
	s_cbranch_execz .LBB0_2
; %bb.1:
	ds_load_2addr_stride64_b32 v[3:4], v2 offset1:1
	s_waitcnt lgkmcnt(0)
	v_dual_max_f32 v4, v4, v4 :: v_dual_max_f32 v3, v3, v3
	s_delay_alu instid0(VALU_DEP_1)
	v_max_f32_e32 v3, v3, v4
	ds_store_b32 v2, v3
.LBB0_2:
	s_or_b32 exec_lo, exec_lo, s7
	s_delay_alu instid0(SALU_CYCLE_1)
	s_mov_b32 s7, exec_lo
	s_waitcnt lgkmcnt(0)
	s_barrier
	buffer_gl0_inv
	v_cmpx_gt_u32_e32 32, v0
	s_cbranch_execz .LBB0_4
; %bb.3:
	ds_load_2addr_b32 v[3:4], v2 offset1:32
	s_waitcnt lgkmcnt(0)
	v_dual_max_f32 v4, v4, v4 :: v_dual_max_f32 v3, v3, v3
	s_delay_alu instid0(VALU_DEP_1)
	v_max_f32_e32 v3, v3, v4
	ds_store_b32 v2, v3
.LBB0_4:
	s_or_b32 exec_lo, exec_lo, s7
	s_delay_alu instid0(SALU_CYCLE_1)
	s_mov_b32 s7, exec_lo
	s_waitcnt lgkmcnt(0)
	s_barrier
	buffer_gl0_inv
	v_cmpx_gt_u32_e32 16, v0
	s_cbranch_execz .LBB0_6
; %bb.5:
	ds_load_2addr_b32 v[3:4], v2 offset1:16
	s_waitcnt lgkmcnt(0)
	v_dual_max_f32 v4, v4, v4 :: v_dual_max_f32 v3, v3, v3
	s_delay_alu instid0(VALU_DEP_1)
	v_max_f32_e32 v3, v3, v4
	ds_store_b32 v2, v3
.LBB0_6:
	;; [unrolled: 16-line block ×5, first 2 shown]
	s_or_b32 exec_lo, exec_lo, s7
	v_cmp_eq_u32_e32 vcc_lo, 0, v0
	s_waitcnt lgkmcnt(0)
	s_barrier
	buffer_gl0_inv
	s_and_saveexec_b32 s7, vcc_lo
	s_cbranch_execz .LBB0_14
; %bb.13:
	v_mov_b32_e32 v3, 0
	ds_load_b32 v3, v3 offset:4
	ds_load_b32 v4, v2
	s_waitcnt lgkmcnt(0)
	v_dual_max_f32 v3, v3, v3 :: v_dual_max_f32 v4, v4, v4
	s_delay_alu instid0(VALU_DEP_1)
	v_max_f32_e32 v3, v4, v3
	ds_store_b32 v2, v3
.LBB0_14:
	s_or_b32 exec_lo, exec_lo, s7
	s_load_b64 s[8:9], s[0:1], 0x0
	s_ashr_i32 s15, s14, 31
	s_waitcnt lgkmcnt(0)
	s_barrier
	buffer_gl0_inv
	s_and_saveexec_b32 s7, vcc_lo
	s_cbranch_execz .LBB0_18
; %bb.15:
	v_mov_b32_e32 v2, 0
	ds_load_b32 v3, v2
	s_clause 0x1
	s_load_b64 s[10:11], s[0:1], 0x18
	s_load_b64 s[0:1], s[0:1], 0x8
	s_waitcnt lgkmcnt(0)
	s_cmp_eq_u64 s[10:11], 0
	v_div_scale_f32 v4, null, 0x43e00000, 0x43e00000, v3
	s_delay_alu instid0(VALU_DEP_1) | instskip(SKIP_2) | instid1(VALU_DEP_1)
	v_rcp_f32_e32 v5, v4
	s_waitcnt_depctr 0xfff
	v_fma_f32 v6, -v4, v5, 1.0
	v_fmac_f32_e32 v5, v6, v5
	v_div_scale_f32 v6, vcc_lo, v3, 0x43e00000, v3
	s_delay_alu instid0(VALU_DEP_1) | instskip(NEXT) | instid1(VALU_DEP_1)
	v_mul_f32_e32 v7, v6, v5
	v_fma_f32 v8, -v4, v7, v6
	s_delay_alu instid0(VALU_DEP_1) | instskip(NEXT) | instid1(VALU_DEP_1)
	v_fmac_f32_e32 v7, v8, v5
	v_fma_f32 v4, -v4, v7, v6
	s_delay_alu instid0(VALU_DEP_1) | instskip(NEXT) | instid1(VALU_DEP_1)
	v_div_fmas_f32 v4, v4, v5, v7
	v_div_fixup_f32 v3, v4, 0x43e00000, v3
	s_cbranch_scc1 .LBB0_17
; %bb.16:
	s_load_b32 s10, s[10:11], 0x0
	s_delay_alu instid0(VALU_DEP_1) | instskip(SKIP_2) | instid1(VALU_DEP_1)
	v_max_f32_e32 v3, v3, v3
	s_waitcnt lgkmcnt(0)
	v_max_f32_e64 v4, s10, s10
	v_min_f32_e32 v3, v3, v4
.LBB0_17:
	s_mul_i32 s2, s3, s2
	s_delay_alu instid0(VALU_DEP_1) | instskip(SKIP_1) | instid1(SALU_CYCLE_1)
	v_max_f32_e32 v3, v3, v3
	s_ashr_i32 s3, s2, 31
	s_lshl_b64 s[2:3], s[2:3], 2
	s_delay_alu instid0(VALU_DEP_1) | instskip(SKIP_3) | instid1(SALU_CYCLE_1)
	v_max_f32_e32 v3, 0x36924925, v3
	s_add_u32 s2, s0, s2
	s_addc_u32 s3, s1, s3
	s_lshl_b64 s[0:1], s[14:15], 2
	s_add_u32 s0, s2, s0
	s_addc_u32 s1, s3, s1
	ds_store_b32 v2, v3
	global_store_b32 v2, v3, s[0:1]
.LBB0_18:
	s_or_b32 exec_lo, exec_lo, s7
	v_mov_b32_e32 v2, 0
	s_waitcnt lgkmcnt(0)
	s_waitcnt_vscnt null, 0x0
	s_barrier
	buffer_gl0_inv
	s_mov_b32 s0, 0x43e00000
	ds_load_b32 v2, v2
	s_waitcnt lgkmcnt(0)
	v_div_scale_f32 v3, null, v2, v2, v1
	v_div_scale_f32 v6, vcc_lo, v1, v2, v1
	s_delay_alu instid0(VALU_DEP_2) | instskip(SKIP_2) | instid1(VALU_DEP_1)
	v_rcp_f32_e32 v4, v3
	s_waitcnt_depctr 0xfff
	v_fma_f32 v5, -v3, v4, 1.0
	v_fmac_f32_e32 v4, v5, v4
	s_delay_alu instid0(VALU_DEP_1) | instskip(NEXT) | instid1(VALU_DEP_1)
	v_mul_f32_e32 v5, v6, v4
	v_fma_f32 v7, -v3, v5, v6
	s_delay_alu instid0(VALU_DEP_1) | instskip(NEXT) | instid1(VALU_DEP_1)
	v_fmac_f32_e32 v5, v7, v4
	v_fma_f32 v3, -v3, v5, v6
	s_delay_alu instid0(VALU_DEP_1) | instskip(NEXT) | instid1(VALU_DEP_1)
	v_div_fmas_f32 v3, v3, v4, v5
	v_div_fixup_f32 v1, v3, v2, v1
	v_mov_b32_e32 v2, 0x7f
	s_delay_alu instid0(VALU_DEP_2) | instskip(SKIP_1) | instid1(VALU_DEP_1)
	v_minmax_f32 v1, v1, s0, 0xc3e00000
	s_mov_b32 s0, exec_lo
	v_and_b32_e32 v3, 0x7fffffff, v1
	s_delay_alu instid0(VALU_DEP_1)
	v_cmpx_gt_u32_e32 0x43f00000, v3
	s_cbranch_execz .LBB0_24
; %bb.19:
	s_mov_b32 s1, exec_lo
                                        ; implicit-def: $vgpr2
	v_cmpx_lt_u32_e32 0x3c7fffff, v3
	s_xor_b32 s1, exec_lo, s1
; %bb.20:
	v_bfe_u32 v2, v1, 20, 1
	s_delay_alu instid0(VALU_DEP_1) | instskip(NEXT) | instid1(VALU_DEP_1)
	v_add3_u32 v2, v1, v2, 0x407ffff
	v_lshrrev_b32_e32 v2, 20, v2
; %bb.21:
	s_and_not1_saveexec_b32 s1, s1
; %bb.22:
	v_add_f32_e64 v2, 0x46800000, |v1|
; %bb.23:
	s_or_b32 exec_lo, exec_lo, s1
.LBB0_24:
	s_delay_alu instid0(SALU_CYCLE_1)
	s_or_b32 exec_lo, exec_lo, s0
	s_mul_i32 s0, s14, s6
	v_lshrrev_b32_e32 v1, 24, v1
	s_ashr_i32 s1, s0, 31
	s_add_u32 s0, s8, s0
	s_addc_u32 s1, s9, s1
	s_add_u32 s0, s0, s4
	s_addc_u32 s1, s1, s5
	v_add_co_u32 v0, s0, s0, v0
	v_and_or_b32 v2, 0x80, v1, v2
	v_add_co_ci_u32_e64 v1, null, s1, 0, s0
	global_store_b8 v[0:1], v2, off
	s_nop 0
	s_sendmsg sendmsg(MSG_DEALLOC_VGPRS)
	s_endpgm
	.section	.rodata,"a",@progbits
	.p2align	6, 0x0
	.amdhsa_kernel _ZN4vllm35silu_and_mul_per_block_quant_kernelIfN3c1013Float8_e4m3fnELb1ELi128EEEvPT0_PfPKT_PKfi
		.amdhsa_group_segment_fixed_size 512
		.amdhsa_private_segment_fixed_size 0
		.amdhsa_kernarg_size 296
		.amdhsa_user_sgpr_count 14
		.amdhsa_user_sgpr_dispatch_ptr 0
		.amdhsa_user_sgpr_queue_ptr 0
		.amdhsa_user_sgpr_kernarg_segment_ptr 1
		.amdhsa_user_sgpr_dispatch_id 0
		.amdhsa_user_sgpr_private_segment_size 0
		.amdhsa_wavefront_size32 1
		.amdhsa_uses_dynamic_stack 0
		.amdhsa_enable_private_segment 0
		.amdhsa_system_sgpr_workgroup_id_x 1
		.amdhsa_system_sgpr_workgroup_id_y 1
		.amdhsa_system_sgpr_workgroup_id_z 0
		.amdhsa_system_sgpr_workgroup_info 0
		.amdhsa_system_vgpr_workitem_id 0
		.amdhsa_next_free_vgpr 10
		.amdhsa_next_free_sgpr 16
		.amdhsa_reserve_vcc 1
		.amdhsa_float_round_mode_32 0
		.amdhsa_float_round_mode_16_64 0
		.amdhsa_float_denorm_mode_32 3
		.amdhsa_float_denorm_mode_16_64 3
		.amdhsa_dx10_clamp 1
		.amdhsa_ieee_mode 1
		.amdhsa_fp16_overflow 0
		.amdhsa_workgroup_processor_mode 1
		.amdhsa_memory_ordered 1
		.amdhsa_forward_progress 0
		.amdhsa_shared_vgpr_count 0
		.amdhsa_exception_fp_ieee_invalid_op 0
		.amdhsa_exception_fp_denorm_src 0
		.amdhsa_exception_fp_ieee_div_zero 0
		.amdhsa_exception_fp_ieee_overflow 0
		.amdhsa_exception_fp_ieee_underflow 0
		.amdhsa_exception_fp_ieee_inexact 0
		.amdhsa_exception_int_div_zero 0
	.end_amdhsa_kernel
	.section	.text._ZN4vllm35silu_and_mul_per_block_quant_kernelIfN3c1013Float8_e4m3fnELb1ELi128EEEvPT0_PfPKT_PKfi,"axG",@progbits,_ZN4vllm35silu_and_mul_per_block_quant_kernelIfN3c1013Float8_e4m3fnELb1ELi128EEEvPT0_PfPKT_PKfi,comdat
.Lfunc_end0:
	.size	_ZN4vllm35silu_and_mul_per_block_quant_kernelIfN3c1013Float8_e4m3fnELb1ELi128EEEvPT0_PfPKT_PKfi, .Lfunc_end0-_ZN4vllm35silu_and_mul_per_block_quant_kernelIfN3c1013Float8_e4m3fnELb1ELi128EEEvPT0_PfPKT_PKfi
                                        ; -- End function
	.section	.AMDGPU.csdata,"",@progbits
; Kernel info:
; codeLenInByte = 1496
; NumSgprs: 18
; NumVgprs: 10
; ScratchSize: 0
; MemoryBound: 0
; FloatMode: 240
; IeeeMode: 1
; LDSByteSize: 512 bytes/workgroup (compile time only)
; SGPRBlocks: 2
; VGPRBlocks: 1
; NumSGPRsForWavesPerEU: 18
; NumVGPRsForWavesPerEU: 10
; Occupancy: 16
; WaveLimiterHint : 0
; COMPUTE_PGM_RSRC2:SCRATCH_EN: 0
; COMPUTE_PGM_RSRC2:USER_SGPR: 14
; COMPUTE_PGM_RSRC2:TRAP_HANDLER: 0
; COMPUTE_PGM_RSRC2:TGID_X_EN: 1
; COMPUTE_PGM_RSRC2:TGID_Y_EN: 1
; COMPUTE_PGM_RSRC2:TGID_Z_EN: 0
; COMPUTE_PGM_RSRC2:TIDIG_COMP_CNT: 0
	.section	.text._ZN4vllm35silu_and_mul_per_block_quant_kernelIfN3c1013Float8_e4m3fnELb0ELi128EEEvPT0_PfPKT_PKfi,"axG",@progbits,_ZN4vllm35silu_and_mul_per_block_quant_kernelIfN3c1013Float8_e4m3fnELb0ELi128EEEvPT0_PfPKT_PKfi,comdat
	.protected	_ZN4vllm35silu_and_mul_per_block_quant_kernelIfN3c1013Float8_e4m3fnELb0ELi128EEEvPT0_PfPKT_PKfi ; -- Begin function _ZN4vllm35silu_and_mul_per_block_quant_kernelIfN3c1013Float8_e4m3fnELb0ELi128EEEvPT0_PfPKT_PKfi
	.globl	_ZN4vllm35silu_and_mul_per_block_quant_kernelIfN3c1013Float8_e4m3fnELb0ELi128EEEvPT0_PfPKT_PKfi
	.p2align	8
	.type	_ZN4vllm35silu_and_mul_per_block_quant_kernelIfN3c1013Float8_e4m3fnELb0ELi128EEEvPT0_PfPKT_PKfi,@function
_ZN4vllm35silu_and_mul_per_block_quant_kernelIfN3c1013Float8_e4m3fnELb0ELi128EEEvPT0_PfPKT_PKfi: ; @_ZN4vllm35silu_and_mul_per_block_quant_kernelIfN3c1013Float8_e4m3fnELb0ELi128EEEvPT0_PfPKT_PKfi
; %bb.0:
	s_clause 0x2
	s_load_b32 s6, s[0:1], 0x20
	s_load_b64 s[8:9], s[0:1], 0x10
	s_load_b32 s5, s[0:1], 0x2c
	s_lshl_b32 s2, s15, 7
	v_lshlrev_b32_e32 v2, 2, v0
	s_mov_b32 s4, s15
	s_waitcnt lgkmcnt(0)
	s_mul_i32 s10, s14, s6
	s_ashr_i32 s7, s6, 31
	s_lshl_b32 s12, s10, 1
	s_delay_alu instid0(SALU_CYCLE_1) | instskip(NEXT) | instid1(SALU_CYCLE_1)
	s_ashr_i32 s13, s12, 31
	s_lshl_b64 s[12:13], s[12:13], 2
	s_delay_alu instid0(SALU_CYCLE_1) | instskip(SKIP_2) | instid1(SALU_CYCLE_1)
	s_add_u32 s11, s8, s12
	s_addc_u32 s12, s9, s13
	s_ashr_i32 s3, s2, 31
	s_lshl_b64 s[8:9], s[2:3], 2
	s_delay_alu instid0(SALU_CYCLE_1)
	s_add_u32 s8, s11, s8
	s_addc_u32 s9, s12, s9
	s_lshl_b64 s[6:7], s[6:7], 2
	global_load_b32 v1, v2, s[8:9]
	s_add_u32 s6, s8, s6
	s_addc_u32 s7, s9, s7
	global_load_b32 v3, v2, s[6:7]
	s_mov_b32 s6, exec_lo
	s_waitcnt vmcnt(1)
	v_mul_f32_e32 v4, 0xbfb8aa3b, v1
	v_cmp_nlt_f32_e32 vcc_lo, 0x42ce8ed0, v1
	s_delay_alu instid0(VALU_DEP_2) | instskip(SKIP_1) | instid1(VALU_DEP_1)
	v_fma_f32 v5, 0xbfb8aa3b, v1, -v4
	v_rndne_f32_e32 v6, v4
	v_dual_fmamk_f32 v5, v1, 0xb2a5705f, v5 :: v_dual_sub_f32 v4, v4, v6
	s_delay_alu instid0(VALU_DEP_1) | instskip(SKIP_1) | instid1(VALU_DEP_2)
	v_add_f32_e32 v4, v4, v5
	v_cvt_i32_f32_e32 v5, v6
	v_exp_f32_e32 v4, v4
	s_waitcnt_depctr 0xfff
	v_ldexp_f32 v4, v4, v5
	s_delay_alu instid0(VALU_DEP_1) | instskip(SKIP_1) | instid1(VALU_DEP_2)
	v_cndmask_b32_e32 v4, 0, v4, vcc_lo
	v_cmp_ngt_f32_e32 vcc_lo, 0xc2b17218, v1
	v_cndmask_b32_e32 v4, 0x7f800000, v4, vcc_lo
	s_delay_alu instid0(VALU_DEP_1) | instskip(NEXT) | instid1(VALU_DEP_1)
	v_add_f32_e32 v4, 1.0, v4
	v_div_scale_f32 v5, null, v4, v4, 1.0
	v_div_scale_f32 v8, vcc_lo, 1.0, v4, 1.0
	s_delay_alu instid0(VALU_DEP_2) | instskip(SKIP_2) | instid1(VALU_DEP_1)
	v_rcp_f32_e32 v6, v5
	s_waitcnt_depctr 0xfff
	v_fma_f32 v7, -v5, v6, 1.0
	v_fmac_f32_e32 v6, v7, v6
	s_delay_alu instid0(VALU_DEP_1) | instskip(NEXT) | instid1(VALU_DEP_1)
	v_mul_f32_e32 v7, v8, v6
	v_fma_f32 v9, -v5, v7, v8
	s_delay_alu instid0(VALU_DEP_1) | instskip(NEXT) | instid1(VALU_DEP_1)
	v_fmac_f32_e32 v7, v9, v6
	v_fma_f32 v5, -v5, v7, v8
	s_delay_alu instid0(VALU_DEP_1) | instskip(NEXT) | instid1(VALU_DEP_1)
	v_div_fmas_f32 v5, v5, v6, v7
	v_div_fixup_f32 v4, v5, v4, 1.0
	s_delay_alu instid0(VALU_DEP_1) | instskip(SKIP_1) | instid1(VALU_DEP_1)
	v_mul_f32_e32 v1, v1, v4
	s_waitcnt vmcnt(0)
	v_mul_f32_e32 v1, v3, v1
	s_delay_alu instid0(VALU_DEP_1)
	v_and_b32_e32 v3, 0x7fffffff, v1
	ds_store_b32 v2, v3
	s_waitcnt lgkmcnt(0)
	s_barrier
	buffer_gl0_inv
	v_cmpx_gt_u32_e32 64, v0
	s_cbranch_execz .LBB1_2
; %bb.1:
	ds_load_2addr_stride64_b32 v[3:4], v2 offset1:1
	s_waitcnt lgkmcnt(0)
	v_dual_max_f32 v4, v4, v4 :: v_dual_max_f32 v3, v3, v3
	s_delay_alu instid0(VALU_DEP_1)
	v_max_f32_e32 v3, v3, v4
	ds_store_b32 v2, v3
.LBB1_2:
	s_or_b32 exec_lo, exec_lo, s6
	s_delay_alu instid0(SALU_CYCLE_1)
	s_mov_b32 s6, exec_lo
	s_waitcnt lgkmcnt(0)
	s_barrier
	buffer_gl0_inv
	v_cmpx_gt_u32_e32 32, v0
	s_cbranch_execz .LBB1_4
; %bb.3:
	ds_load_2addr_b32 v[3:4], v2 offset1:32
	s_waitcnt lgkmcnt(0)
	v_dual_max_f32 v4, v4, v4 :: v_dual_max_f32 v3, v3, v3
	s_delay_alu instid0(VALU_DEP_1)
	v_max_f32_e32 v3, v3, v4
	ds_store_b32 v2, v3
.LBB1_4:
	s_or_b32 exec_lo, exec_lo, s6
	s_delay_alu instid0(SALU_CYCLE_1)
	s_mov_b32 s6, exec_lo
	s_waitcnt lgkmcnt(0)
	s_barrier
	buffer_gl0_inv
	v_cmpx_gt_u32_e32 16, v0
	s_cbranch_execz .LBB1_6
; %bb.5:
	ds_load_2addr_b32 v[3:4], v2 offset1:16
	s_waitcnt lgkmcnt(0)
	v_dual_max_f32 v4, v4, v4 :: v_dual_max_f32 v3, v3, v3
	s_delay_alu instid0(VALU_DEP_1)
	v_max_f32_e32 v3, v3, v4
	ds_store_b32 v2, v3
.LBB1_6:
	;; [unrolled: 16-line block ×5, first 2 shown]
	s_or_b32 exec_lo, exec_lo, s6
	v_cmp_eq_u32_e32 vcc_lo, 0, v0
	s_waitcnt lgkmcnt(0)
	s_barrier
	buffer_gl0_inv
	s_and_saveexec_b32 s6, vcc_lo
	s_cbranch_execz .LBB1_14
; %bb.13:
	v_mov_b32_e32 v3, 0
	ds_load_b32 v3, v3 offset:4
	ds_load_b32 v4, v2
	s_waitcnt lgkmcnt(0)
	v_dual_max_f32 v3, v3, v3 :: v_dual_max_f32 v4, v4, v4
	s_delay_alu instid0(VALU_DEP_1)
	v_max_f32_e32 v3, v4, v3
	ds_store_b32 v2, v3
.LBB1_14:
	s_or_b32 exec_lo, exec_lo, s6
	s_load_b64 s[6:7], s[0:1], 0x0
	s_waitcnt lgkmcnt(0)
	s_barrier
	buffer_gl0_inv
	s_and_saveexec_b32 s11, vcc_lo
	s_cbranch_execz .LBB1_18
; %bb.15:
	v_mov_b32_e32 v2, 0
	ds_load_b32 v3, v2
	s_clause 0x1
	s_load_b64 s[8:9], s[0:1], 0x18
	s_load_b64 s[0:1], s[0:1], 0x8
	s_waitcnt lgkmcnt(0)
	s_cmp_eq_u64 s[8:9], 0
	v_div_scale_f32 v4, null, 0x43e00000, 0x43e00000, v3
	s_delay_alu instid0(VALU_DEP_1) | instskip(SKIP_2) | instid1(VALU_DEP_1)
	v_rcp_f32_e32 v5, v4
	s_waitcnt_depctr 0xfff
	v_fma_f32 v6, -v4, v5, 1.0
	v_fmac_f32_e32 v5, v6, v5
	v_div_scale_f32 v6, vcc_lo, v3, 0x43e00000, v3
	s_delay_alu instid0(VALU_DEP_1) | instskip(NEXT) | instid1(VALU_DEP_1)
	v_mul_f32_e32 v7, v6, v5
	v_fma_f32 v8, -v4, v7, v6
	s_delay_alu instid0(VALU_DEP_1) | instskip(NEXT) | instid1(VALU_DEP_1)
	v_fmac_f32_e32 v7, v8, v5
	v_fma_f32 v4, -v4, v7, v6
	s_delay_alu instid0(VALU_DEP_1) | instskip(NEXT) | instid1(VALU_DEP_1)
	v_div_fmas_f32 v4, v4, v5, v7
	v_div_fixup_f32 v3, v4, 0x43e00000, v3
	s_cbranch_scc1 .LBB1_17
; %bb.16:
	s_load_b32 s8, s[8:9], 0x0
	s_delay_alu instid0(VALU_DEP_1) | instskip(SKIP_2) | instid1(VALU_DEP_1)
	v_max_f32_e32 v3, v3, v3
	s_waitcnt lgkmcnt(0)
	v_max_f32_e64 v4, s8, s8
	v_min_f32_e32 v3, v3, v4
.LBB1_17:
	s_mul_i32 s8, s5, s14
	s_delay_alu instid0(VALU_DEP_1) | instskip(SKIP_3) | instid1(VALU_DEP_1)
	v_max_f32_e32 v3, v3, v3
	s_ashr_i32 s9, s8, 31
	s_ashr_i32 s5, s4, 31
	s_lshl_b64 s[8:9], s[8:9], 2
	v_max_f32_e32 v3, 0x36924925, v3
	s_add_u32 s8, s0, s8
	s_addc_u32 s9, s1, s9
	s_lshl_b64 s[0:1], s[4:5], 2
	s_delay_alu instid0(SALU_CYCLE_1)
	s_add_u32 s0, s8, s0
	s_addc_u32 s1, s9, s1
	ds_store_b32 v2, v3
	global_store_b32 v2, v3, s[0:1]
.LBB1_18:
	s_or_b32 exec_lo, exec_lo, s11
	v_mov_b32_e32 v2, 0
	s_waitcnt lgkmcnt(0)
	s_waitcnt_vscnt null, 0x0
	s_barrier
	buffer_gl0_inv
	s_mov_b32 s0, 0x43e00000
	ds_load_b32 v2, v2
	s_waitcnt lgkmcnt(0)
	v_div_scale_f32 v3, null, v2, v2, v1
	v_div_scale_f32 v6, vcc_lo, v1, v2, v1
	s_delay_alu instid0(VALU_DEP_2) | instskip(SKIP_2) | instid1(VALU_DEP_1)
	v_rcp_f32_e32 v4, v3
	s_waitcnt_depctr 0xfff
	v_fma_f32 v5, -v3, v4, 1.0
	v_fmac_f32_e32 v4, v5, v4
	s_delay_alu instid0(VALU_DEP_1) | instskip(NEXT) | instid1(VALU_DEP_1)
	v_mul_f32_e32 v5, v6, v4
	v_fma_f32 v7, -v3, v5, v6
	s_delay_alu instid0(VALU_DEP_1) | instskip(NEXT) | instid1(VALU_DEP_1)
	v_fmac_f32_e32 v5, v7, v4
	v_fma_f32 v3, -v3, v5, v6
	s_delay_alu instid0(VALU_DEP_1) | instskip(NEXT) | instid1(VALU_DEP_1)
	v_div_fmas_f32 v3, v3, v4, v5
	v_div_fixup_f32 v1, v3, v2, v1
	v_mov_b32_e32 v2, 0x7f
	s_delay_alu instid0(VALU_DEP_2) | instskip(SKIP_1) | instid1(VALU_DEP_1)
	v_minmax_f32 v1, v1, s0, 0xc3e00000
	s_mov_b32 s0, exec_lo
	v_and_b32_e32 v3, 0x7fffffff, v1
	s_delay_alu instid0(VALU_DEP_1)
	v_cmpx_gt_u32_e32 0x43f00000, v3
	s_cbranch_execz .LBB1_24
; %bb.19:
	s_mov_b32 s1, exec_lo
                                        ; implicit-def: $vgpr2
	v_cmpx_lt_u32_e32 0x3c7fffff, v3
	s_xor_b32 s1, exec_lo, s1
; %bb.20:
	v_bfe_u32 v2, v1, 20, 1
	s_delay_alu instid0(VALU_DEP_1) | instskip(NEXT) | instid1(VALU_DEP_1)
	v_add3_u32 v2, v1, v2, 0x407ffff
	v_lshrrev_b32_e32 v2, 20, v2
; %bb.21:
	s_and_not1_saveexec_b32 s1, s1
; %bb.22:
	v_add_f32_e64 v2, 0x46800000, |v1|
; %bb.23:
	s_or_b32 exec_lo, exec_lo, s1
.LBB1_24:
	s_delay_alu instid0(SALU_CYCLE_1)
	s_or_b32 exec_lo, exec_lo, s0
	s_ashr_i32 s0, s10, 31
	s_add_u32 s1, s6, s10
	v_lshrrev_b32_e32 v1, 24, v1
	s_addc_u32 s0, s7, s0
	s_add_u32 s1, s1, s2
	s_addc_u32 s0, s0, s3
	v_add_co_u32 v0, s1, s1, v0
	v_and_or_b32 v2, 0x80, v1, v2
	v_add_co_ci_u32_e64 v1, null, s0, 0, s1
	global_store_b8 v[0:1], v2, off
	s_nop 0
	s_sendmsg sendmsg(MSG_DEALLOC_VGPRS)
	s_endpgm
	.section	.rodata,"a",@progbits
	.p2align	6, 0x0
	.amdhsa_kernel _ZN4vllm35silu_and_mul_per_block_quant_kernelIfN3c1013Float8_e4m3fnELb0ELi128EEEvPT0_PfPKT_PKfi
		.amdhsa_group_segment_fixed_size 512
		.amdhsa_private_segment_fixed_size 0
		.amdhsa_kernarg_size 296
		.amdhsa_user_sgpr_count 14
		.amdhsa_user_sgpr_dispatch_ptr 0
		.amdhsa_user_sgpr_queue_ptr 0
		.amdhsa_user_sgpr_kernarg_segment_ptr 1
		.amdhsa_user_sgpr_dispatch_id 0
		.amdhsa_user_sgpr_private_segment_size 0
		.amdhsa_wavefront_size32 1
		.amdhsa_uses_dynamic_stack 0
		.amdhsa_enable_private_segment 0
		.amdhsa_system_sgpr_workgroup_id_x 1
		.amdhsa_system_sgpr_workgroup_id_y 1
		.amdhsa_system_sgpr_workgroup_id_z 0
		.amdhsa_system_sgpr_workgroup_info 0
		.amdhsa_system_vgpr_workitem_id 0
		.amdhsa_next_free_vgpr 10
		.amdhsa_next_free_sgpr 16
		.amdhsa_reserve_vcc 1
		.amdhsa_float_round_mode_32 0
		.amdhsa_float_round_mode_16_64 0
		.amdhsa_float_denorm_mode_32 3
		.amdhsa_float_denorm_mode_16_64 3
		.amdhsa_dx10_clamp 1
		.amdhsa_ieee_mode 1
		.amdhsa_fp16_overflow 0
		.amdhsa_workgroup_processor_mode 1
		.amdhsa_memory_ordered 1
		.amdhsa_forward_progress 0
		.amdhsa_shared_vgpr_count 0
		.amdhsa_exception_fp_ieee_invalid_op 0
		.amdhsa_exception_fp_denorm_src 0
		.amdhsa_exception_fp_ieee_div_zero 0
		.amdhsa_exception_fp_ieee_overflow 0
		.amdhsa_exception_fp_ieee_underflow 0
		.amdhsa_exception_fp_ieee_inexact 0
		.amdhsa_exception_int_div_zero 0
	.end_amdhsa_kernel
	.section	.text._ZN4vllm35silu_and_mul_per_block_quant_kernelIfN3c1013Float8_e4m3fnELb0ELi128EEEvPT0_PfPKT_PKfi,"axG",@progbits,_ZN4vllm35silu_and_mul_per_block_quant_kernelIfN3c1013Float8_e4m3fnELb0ELi128EEEvPT0_PfPKT_PKfi,comdat
.Lfunc_end1:
	.size	_ZN4vllm35silu_and_mul_per_block_quant_kernelIfN3c1013Float8_e4m3fnELb0ELi128EEEvPT0_PfPKT_PKfi, .Lfunc_end1-_ZN4vllm35silu_and_mul_per_block_quant_kernelIfN3c1013Float8_e4m3fnELb0ELi128EEEvPT0_PfPKT_PKfi
                                        ; -- End function
	.section	.AMDGPU.csdata,"",@progbits
; Kernel info:
; codeLenInByte = 1496
; NumSgprs: 18
; NumVgprs: 10
; ScratchSize: 0
; MemoryBound: 0
; FloatMode: 240
; IeeeMode: 1
; LDSByteSize: 512 bytes/workgroup (compile time only)
; SGPRBlocks: 2
; VGPRBlocks: 1
; NumSGPRsForWavesPerEU: 18
; NumVGPRsForWavesPerEU: 10
; Occupancy: 16
; WaveLimiterHint : 0
; COMPUTE_PGM_RSRC2:SCRATCH_EN: 0
; COMPUTE_PGM_RSRC2:USER_SGPR: 14
; COMPUTE_PGM_RSRC2:TRAP_HANDLER: 0
; COMPUTE_PGM_RSRC2:TGID_X_EN: 1
; COMPUTE_PGM_RSRC2:TGID_Y_EN: 1
; COMPUTE_PGM_RSRC2:TGID_Z_EN: 0
; COMPUTE_PGM_RSRC2:TIDIG_COMP_CNT: 0
	.section	.text._ZN4vllm35silu_and_mul_per_block_quant_kernelIfN3c1013Float8_e4m3fnELb1ELi64EEEvPT0_PfPKT_PKfi,"axG",@progbits,_ZN4vllm35silu_and_mul_per_block_quant_kernelIfN3c1013Float8_e4m3fnELb1ELi64EEEvPT0_PfPKT_PKfi,comdat
	.protected	_ZN4vllm35silu_and_mul_per_block_quant_kernelIfN3c1013Float8_e4m3fnELb1ELi64EEEvPT0_PfPKT_PKfi ; -- Begin function _ZN4vllm35silu_and_mul_per_block_quant_kernelIfN3c1013Float8_e4m3fnELb1ELi64EEEvPT0_PfPKT_PKfi
	.globl	_ZN4vllm35silu_and_mul_per_block_quant_kernelIfN3c1013Float8_e4m3fnELb1ELi64EEEvPT0_PfPKT_PKfi
	.p2align	8
	.type	_ZN4vllm35silu_and_mul_per_block_quant_kernelIfN3c1013Float8_e4m3fnELb1ELi64EEEvPT0_PfPKT_PKfi,@function
_ZN4vllm35silu_and_mul_per_block_quant_kernelIfN3c1013Float8_e4m3fnELb1ELi64EEEvPT0_PfPKT_PKfi: ; @_ZN4vllm35silu_and_mul_per_block_quant_kernelIfN3c1013Float8_e4m3fnELb1ELi64EEEvPT0_PfPKT_PKfi
; %bb.0:
	s_clause 0x2
	s_load_b32 s6, s[0:1], 0x20
	s_load_b64 s[8:9], s[0:1], 0x10
	s_load_b32 s3, s[0:1], 0x28
	v_lshlrev_b32_e32 v2, 2, v0
	s_mov_b32 s2, s15
	s_waitcnt lgkmcnt(0)
	s_mul_i32 s4, s14, s6
	s_ashr_i32 s7, s6, 31
	s_lshl_b32 s10, s4, 1
	s_lshl_b32 s4, s15, 6
	s_ashr_i32 s11, s10, 31
	s_delay_alu instid0(SALU_CYCLE_1) | instskip(NEXT) | instid1(SALU_CYCLE_1)
	s_lshl_b64 s[10:11], s[10:11], 2
	s_add_u32 s10, s8, s10
	s_addc_u32 s11, s9, s11
	s_ashr_i32 s5, s4, 31
	s_delay_alu instid0(SALU_CYCLE_1) | instskip(NEXT) | instid1(SALU_CYCLE_1)
	s_lshl_b64 s[8:9], s[4:5], 2
	s_add_u32 s8, s10, s8
	s_addc_u32 s9, s11, s9
	s_lshl_b64 s[10:11], s[6:7], 2
	global_load_b32 v1, v2, s[8:9]
	s_add_u32 s8, s8, s10
	s_addc_u32 s9, s9, s11
	s_mov_b32 s7, exec_lo
	s_waitcnt vmcnt(0)
	v_mul_f32_e32 v4, 0xbfb8aa3b, v1
	v_cmp_nlt_f32_e32 vcc_lo, 0x42ce8ed0, v1
	s_delay_alu instid0(VALU_DEP_2) | instskip(SKIP_1) | instid1(VALU_DEP_2)
	v_fma_f32 v5, 0xbfb8aa3b, v1, -v4
	v_rndne_f32_e32 v6, v4
	v_fmamk_f32 v5, v1, 0xb2a5705f, v5
	global_load_b32 v3, v2, s[8:9]
	v_sub_f32_e32 v4, v4, v6
	s_delay_alu instid0(VALU_DEP_1) | instskip(SKIP_1) | instid1(VALU_DEP_2)
	v_add_f32_e32 v4, v4, v5
	v_cvt_i32_f32_e32 v5, v6
	v_exp_f32_e32 v4, v4
	s_waitcnt_depctr 0xfff
	v_ldexp_f32 v4, v4, v5
	s_delay_alu instid0(VALU_DEP_1) | instskip(SKIP_1) | instid1(VALU_DEP_2)
	v_cndmask_b32_e32 v4, 0, v4, vcc_lo
	v_cmp_ngt_f32_e32 vcc_lo, 0xc2b17218, v1
	v_cndmask_b32_e32 v4, 0x7f800000, v4, vcc_lo
	s_delay_alu instid0(VALU_DEP_1) | instskip(NEXT) | instid1(VALU_DEP_1)
	v_add_f32_e32 v4, 1.0, v4
	v_div_scale_f32 v5, null, v4, v4, 1.0
	v_div_scale_f32 v8, vcc_lo, 1.0, v4, 1.0
	s_delay_alu instid0(VALU_DEP_2) | instskip(SKIP_2) | instid1(VALU_DEP_1)
	v_rcp_f32_e32 v6, v5
	s_waitcnt_depctr 0xfff
	v_fma_f32 v7, -v5, v6, 1.0
	v_fmac_f32_e32 v6, v7, v6
	s_delay_alu instid0(VALU_DEP_1) | instskip(NEXT) | instid1(VALU_DEP_1)
	v_mul_f32_e32 v7, v8, v6
	v_fma_f32 v9, -v5, v7, v8
	s_delay_alu instid0(VALU_DEP_1) | instskip(NEXT) | instid1(VALU_DEP_1)
	v_fmac_f32_e32 v7, v9, v6
	v_fma_f32 v5, -v5, v7, v8
	s_delay_alu instid0(VALU_DEP_1) | instskip(NEXT) | instid1(VALU_DEP_1)
	v_div_fmas_f32 v5, v5, v6, v7
	v_div_fixup_f32 v4, v5, v4, 1.0
	s_delay_alu instid0(VALU_DEP_1) | instskip(SKIP_1) | instid1(VALU_DEP_1)
	v_mul_f32_e32 v1, v1, v4
	s_waitcnt vmcnt(0)
	v_mul_f32_e32 v1, v3, v1
	s_delay_alu instid0(VALU_DEP_1)
	v_and_b32_e32 v3, 0x7fffffff, v1
	ds_store_b32 v2, v3
	s_waitcnt lgkmcnt(0)
	s_barrier
	buffer_gl0_inv
	v_cmpx_gt_u32_e32 32, v0
	s_cbranch_execz .LBB2_2
; %bb.1:
	ds_load_2addr_b32 v[3:4], v2 offset1:32
	s_waitcnt lgkmcnt(0)
	v_dual_max_f32 v4, v4, v4 :: v_dual_max_f32 v3, v3, v3
	s_delay_alu instid0(VALU_DEP_1)
	v_max_f32_e32 v3, v3, v4
	ds_store_b32 v2, v3
.LBB2_2:
	s_or_b32 exec_lo, exec_lo, s7
	s_delay_alu instid0(SALU_CYCLE_1)
	s_mov_b32 s7, exec_lo
	s_waitcnt lgkmcnt(0)
	s_barrier
	buffer_gl0_inv
	v_cmpx_gt_u32_e32 16, v0
	s_cbranch_execz .LBB2_4
; %bb.3:
	ds_load_2addr_b32 v[3:4], v2 offset1:16
	s_waitcnt lgkmcnt(0)
	v_dual_max_f32 v4, v4, v4 :: v_dual_max_f32 v3, v3, v3
	s_delay_alu instid0(VALU_DEP_1)
	v_max_f32_e32 v3, v3, v4
	ds_store_b32 v2, v3
.LBB2_4:
	s_or_b32 exec_lo, exec_lo, s7
	s_delay_alu instid0(SALU_CYCLE_1)
	s_mov_b32 s7, exec_lo
	;; [unrolled: 16-line block ×4, first 2 shown]
	s_waitcnt lgkmcnt(0)
	s_barrier
	buffer_gl0_inv
	v_cmpx_gt_u32_e32 2, v0
	s_cbranch_execz .LBB2_10
; %bb.9:
	ds_load_2addr_b32 v[3:4], v2 offset1:2
	s_waitcnt lgkmcnt(0)
	v_dual_max_f32 v4, v4, v4 :: v_dual_max_f32 v3, v3, v3
	s_delay_alu instid0(VALU_DEP_1)
	v_max_f32_e32 v3, v3, v4
	ds_store_b32 v2, v3
.LBB2_10:
	s_or_b32 exec_lo, exec_lo, s7
	v_cmp_eq_u32_e32 vcc_lo, 0, v0
	s_waitcnt lgkmcnt(0)
	s_barrier
	buffer_gl0_inv
	s_and_saveexec_b32 s7, vcc_lo
	s_cbranch_execz .LBB2_12
; %bb.11:
	v_mov_b32_e32 v3, 0
	ds_load_b32 v3, v3 offset:4
	ds_load_b32 v4, v2
	s_waitcnt lgkmcnt(0)
	v_dual_max_f32 v3, v3, v3 :: v_dual_max_f32 v4, v4, v4
	s_delay_alu instid0(VALU_DEP_1)
	v_max_f32_e32 v3, v4, v3
	ds_store_b32 v2, v3
.LBB2_12:
	s_or_b32 exec_lo, exec_lo, s7
	s_load_b64 s[8:9], s[0:1], 0x0
	s_ashr_i32 s15, s14, 31
	s_waitcnt lgkmcnt(0)
	s_barrier
	buffer_gl0_inv
	s_and_saveexec_b32 s7, vcc_lo
	s_cbranch_execz .LBB2_16
; %bb.13:
	v_mov_b32_e32 v2, 0
	ds_load_b32 v3, v2
	s_clause 0x1
	s_load_b64 s[10:11], s[0:1], 0x18
	s_load_b64 s[0:1], s[0:1], 0x8
	s_waitcnt lgkmcnt(0)
	s_cmp_eq_u64 s[10:11], 0
	v_div_scale_f32 v4, null, 0x43e00000, 0x43e00000, v3
	s_delay_alu instid0(VALU_DEP_1) | instskip(SKIP_2) | instid1(VALU_DEP_1)
	v_rcp_f32_e32 v5, v4
	s_waitcnt_depctr 0xfff
	v_fma_f32 v6, -v4, v5, 1.0
	v_fmac_f32_e32 v5, v6, v5
	v_div_scale_f32 v6, vcc_lo, v3, 0x43e00000, v3
	s_delay_alu instid0(VALU_DEP_1) | instskip(NEXT) | instid1(VALU_DEP_1)
	v_mul_f32_e32 v7, v6, v5
	v_fma_f32 v8, -v4, v7, v6
	s_delay_alu instid0(VALU_DEP_1) | instskip(NEXT) | instid1(VALU_DEP_1)
	v_fmac_f32_e32 v7, v8, v5
	v_fma_f32 v4, -v4, v7, v6
	s_delay_alu instid0(VALU_DEP_1) | instskip(NEXT) | instid1(VALU_DEP_1)
	v_div_fmas_f32 v4, v4, v5, v7
	v_div_fixup_f32 v3, v4, 0x43e00000, v3
	s_cbranch_scc1 .LBB2_15
; %bb.14:
	s_load_b32 s10, s[10:11], 0x0
	s_delay_alu instid0(VALU_DEP_1) | instskip(SKIP_2) | instid1(VALU_DEP_1)
	v_max_f32_e32 v3, v3, v3
	s_waitcnt lgkmcnt(0)
	v_max_f32_e64 v4, s10, s10
	v_min_f32_e32 v3, v3, v4
.LBB2_15:
	s_mul_i32 s2, s3, s2
	s_delay_alu instid0(VALU_DEP_1) | instskip(SKIP_1) | instid1(SALU_CYCLE_1)
	v_max_f32_e32 v3, v3, v3
	s_ashr_i32 s3, s2, 31
	s_lshl_b64 s[2:3], s[2:3], 2
	s_delay_alu instid0(VALU_DEP_1) | instskip(SKIP_3) | instid1(SALU_CYCLE_1)
	v_max_f32_e32 v3, 0x36924925, v3
	s_add_u32 s2, s0, s2
	s_addc_u32 s3, s1, s3
	s_lshl_b64 s[0:1], s[14:15], 2
	s_add_u32 s0, s2, s0
	s_addc_u32 s1, s3, s1
	ds_store_b32 v2, v3
	global_store_b32 v2, v3, s[0:1]
.LBB2_16:
	s_or_b32 exec_lo, exec_lo, s7
	v_mov_b32_e32 v2, 0
	s_waitcnt lgkmcnt(0)
	s_waitcnt_vscnt null, 0x0
	s_barrier
	buffer_gl0_inv
	s_mov_b32 s0, 0x43e00000
	ds_load_b32 v2, v2
	s_waitcnt lgkmcnt(0)
	v_div_scale_f32 v3, null, v2, v2, v1
	v_div_scale_f32 v6, vcc_lo, v1, v2, v1
	s_delay_alu instid0(VALU_DEP_2) | instskip(SKIP_2) | instid1(VALU_DEP_1)
	v_rcp_f32_e32 v4, v3
	s_waitcnt_depctr 0xfff
	v_fma_f32 v5, -v3, v4, 1.0
	v_fmac_f32_e32 v4, v5, v4
	s_delay_alu instid0(VALU_DEP_1) | instskip(NEXT) | instid1(VALU_DEP_1)
	v_mul_f32_e32 v5, v6, v4
	v_fma_f32 v7, -v3, v5, v6
	s_delay_alu instid0(VALU_DEP_1) | instskip(NEXT) | instid1(VALU_DEP_1)
	v_fmac_f32_e32 v5, v7, v4
	v_fma_f32 v3, -v3, v5, v6
	s_delay_alu instid0(VALU_DEP_1) | instskip(NEXT) | instid1(VALU_DEP_1)
	v_div_fmas_f32 v3, v3, v4, v5
	v_div_fixup_f32 v1, v3, v2, v1
	v_mov_b32_e32 v2, 0x7f
	s_delay_alu instid0(VALU_DEP_2) | instskip(SKIP_1) | instid1(VALU_DEP_1)
	v_minmax_f32 v1, v1, s0, 0xc3e00000
	s_mov_b32 s0, exec_lo
	v_and_b32_e32 v3, 0x7fffffff, v1
	s_delay_alu instid0(VALU_DEP_1)
	v_cmpx_gt_u32_e32 0x43f00000, v3
	s_cbranch_execz .LBB2_22
; %bb.17:
	s_mov_b32 s1, exec_lo
                                        ; implicit-def: $vgpr2
	v_cmpx_lt_u32_e32 0x3c7fffff, v3
	s_xor_b32 s1, exec_lo, s1
; %bb.18:
	v_bfe_u32 v2, v1, 20, 1
	s_delay_alu instid0(VALU_DEP_1) | instskip(NEXT) | instid1(VALU_DEP_1)
	v_add3_u32 v2, v1, v2, 0x407ffff
	v_lshrrev_b32_e32 v2, 20, v2
; %bb.19:
	s_and_not1_saveexec_b32 s1, s1
; %bb.20:
	v_add_f32_e64 v2, 0x46800000, |v1|
; %bb.21:
	s_or_b32 exec_lo, exec_lo, s1
.LBB2_22:
	s_delay_alu instid0(SALU_CYCLE_1)
	s_or_b32 exec_lo, exec_lo, s0
	s_mul_i32 s0, s14, s6
	v_lshrrev_b32_e32 v1, 24, v1
	s_ashr_i32 s1, s0, 31
	s_add_u32 s0, s8, s0
	s_addc_u32 s1, s9, s1
	s_add_u32 s0, s0, s4
	s_addc_u32 s1, s1, s5
	v_add_co_u32 v0, s0, s0, v0
	v_and_or_b32 v2, 0x80, v1, v2
	v_add_co_ci_u32_e64 v1, null, s1, 0, s0
	global_store_b8 v[0:1], v2, off
	s_nop 0
	s_sendmsg sendmsg(MSG_DEALLOC_VGPRS)
	s_endpgm
	.section	.rodata,"a",@progbits
	.p2align	6, 0x0
	.amdhsa_kernel _ZN4vllm35silu_and_mul_per_block_quant_kernelIfN3c1013Float8_e4m3fnELb1ELi64EEEvPT0_PfPKT_PKfi
		.amdhsa_group_segment_fixed_size 256
		.amdhsa_private_segment_fixed_size 0
		.amdhsa_kernarg_size 296
		.amdhsa_user_sgpr_count 14
		.amdhsa_user_sgpr_dispatch_ptr 0
		.amdhsa_user_sgpr_queue_ptr 0
		.amdhsa_user_sgpr_kernarg_segment_ptr 1
		.amdhsa_user_sgpr_dispatch_id 0
		.amdhsa_user_sgpr_private_segment_size 0
		.amdhsa_wavefront_size32 1
		.amdhsa_uses_dynamic_stack 0
		.amdhsa_enable_private_segment 0
		.amdhsa_system_sgpr_workgroup_id_x 1
		.amdhsa_system_sgpr_workgroup_id_y 1
		.amdhsa_system_sgpr_workgroup_id_z 0
		.amdhsa_system_sgpr_workgroup_info 0
		.amdhsa_system_vgpr_workitem_id 0
		.amdhsa_next_free_vgpr 10
		.amdhsa_next_free_sgpr 16
		.amdhsa_reserve_vcc 1
		.amdhsa_float_round_mode_32 0
		.amdhsa_float_round_mode_16_64 0
		.amdhsa_float_denorm_mode_32 3
		.amdhsa_float_denorm_mode_16_64 3
		.amdhsa_dx10_clamp 1
		.amdhsa_ieee_mode 1
		.amdhsa_fp16_overflow 0
		.amdhsa_workgroup_processor_mode 1
		.amdhsa_memory_ordered 1
		.amdhsa_forward_progress 0
		.amdhsa_shared_vgpr_count 0
		.amdhsa_exception_fp_ieee_invalid_op 0
		.amdhsa_exception_fp_denorm_src 0
		.amdhsa_exception_fp_ieee_div_zero 0
		.amdhsa_exception_fp_ieee_overflow 0
		.amdhsa_exception_fp_ieee_underflow 0
		.amdhsa_exception_fp_ieee_inexact 0
		.amdhsa_exception_int_div_zero 0
	.end_amdhsa_kernel
	.section	.text._ZN4vllm35silu_and_mul_per_block_quant_kernelIfN3c1013Float8_e4m3fnELb1ELi64EEEvPT0_PfPKT_PKfi,"axG",@progbits,_ZN4vllm35silu_and_mul_per_block_quant_kernelIfN3c1013Float8_e4m3fnELb1ELi64EEEvPT0_PfPKT_PKfi,comdat
.Lfunc_end2:
	.size	_ZN4vllm35silu_and_mul_per_block_quant_kernelIfN3c1013Float8_e4m3fnELb1ELi64EEEvPT0_PfPKT_PKfi, .Lfunc_end2-_ZN4vllm35silu_and_mul_per_block_quant_kernelIfN3c1013Float8_e4m3fnELb1ELi64EEEvPT0_PfPKT_PKfi
                                        ; -- End function
	.section	.AMDGPU.csdata,"",@progbits
; Kernel info:
; codeLenInByte = 1424
; NumSgprs: 18
; NumVgprs: 10
; ScratchSize: 0
; MemoryBound: 0
; FloatMode: 240
; IeeeMode: 1
; LDSByteSize: 256 bytes/workgroup (compile time only)
; SGPRBlocks: 2
; VGPRBlocks: 1
; NumSGPRsForWavesPerEU: 18
; NumVGPRsForWavesPerEU: 10
; Occupancy: 16
; WaveLimiterHint : 0
; COMPUTE_PGM_RSRC2:SCRATCH_EN: 0
; COMPUTE_PGM_RSRC2:USER_SGPR: 14
; COMPUTE_PGM_RSRC2:TRAP_HANDLER: 0
; COMPUTE_PGM_RSRC2:TGID_X_EN: 1
; COMPUTE_PGM_RSRC2:TGID_Y_EN: 1
; COMPUTE_PGM_RSRC2:TGID_Z_EN: 0
; COMPUTE_PGM_RSRC2:TIDIG_COMP_CNT: 0
	.section	.text._ZN4vllm35silu_and_mul_per_block_quant_kernelIfN3c1013Float8_e4m3fnELb0ELi64EEEvPT0_PfPKT_PKfi,"axG",@progbits,_ZN4vllm35silu_and_mul_per_block_quant_kernelIfN3c1013Float8_e4m3fnELb0ELi64EEEvPT0_PfPKT_PKfi,comdat
	.protected	_ZN4vllm35silu_and_mul_per_block_quant_kernelIfN3c1013Float8_e4m3fnELb0ELi64EEEvPT0_PfPKT_PKfi ; -- Begin function _ZN4vllm35silu_and_mul_per_block_quant_kernelIfN3c1013Float8_e4m3fnELb0ELi64EEEvPT0_PfPKT_PKfi
	.globl	_ZN4vllm35silu_and_mul_per_block_quant_kernelIfN3c1013Float8_e4m3fnELb0ELi64EEEvPT0_PfPKT_PKfi
	.p2align	8
	.type	_ZN4vllm35silu_and_mul_per_block_quant_kernelIfN3c1013Float8_e4m3fnELb0ELi64EEEvPT0_PfPKT_PKfi,@function
_ZN4vllm35silu_and_mul_per_block_quant_kernelIfN3c1013Float8_e4m3fnELb0ELi64EEEvPT0_PfPKT_PKfi: ; @_ZN4vllm35silu_and_mul_per_block_quant_kernelIfN3c1013Float8_e4m3fnELb0ELi64EEEvPT0_PfPKT_PKfi
; %bb.0:
	s_clause 0x2
	s_load_b32 s6, s[0:1], 0x20
	s_load_b64 s[8:9], s[0:1], 0x10
	s_load_b32 s5, s[0:1], 0x2c
	s_lshl_b32 s2, s15, 6
	v_lshlrev_b32_e32 v2, 2, v0
	s_mov_b32 s4, s15
	s_waitcnt lgkmcnt(0)
	s_mul_i32 s10, s14, s6
	s_ashr_i32 s7, s6, 31
	s_lshl_b32 s12, s10, 1
	s_delay_alu instid0(SALU_CYCLE_1) | instskip(NEXT) | instid1(SALU_CYCLE_1)
	s_ashr_i32 s13, s12, 31
	s_lshl_b64 s[12:13], s[12:13], 2
	s_delay_alu instid0(SALU_CYCLE_1) | instskip(SKIP_2) | instid1(SALU_CYCLE_1)
	s_add_u32 s11, s8, s12
	s_addc_u32 s12, s9, s13
	s_ashr_i32 s3, s2, 31
	s_lshl_b64 s[8:9], s[2:3], 2
	s_delay_alu instid0(SALU_CYCLE_1)
	s_add_u32 s8, s11, s8
	s_addc_u32 s9, s12, s9
	s_lshl_b64 s[6:7], s[6:7], 2
	global_load_b32 v1, v2, s[8:9]
	s_add_u32 s6, s8, s6
	s_addc_u32 s7, s9, s7
	global_load_b32 v3, v2, s[6:7]
	s_mov_b32 s6, exec_lo
	s_waitcnt vmcnt(1)
	v_mul_f32_e32 v4, 0xbfb8aa3b, v1
	v_cmp_nlt_f32_e32 vcc_lo, 0x42ce8ed0, v1
	s_delay_alu instid0(VALU_DEP_2) | instskip(SKIP_1) | instid1(VALU_DEP_1)
	v_fma_f32 v5, 0xbfb8aa3b, v1, -v4
	v_rndne_f32_e32 v6, v4
	v_dual_fmamk_f32 v5, v1, 0xb2a5705f, v5 :: v_dual_sub_f32 v4, v4, v6
	s_delay_alu instid0(VALU_DEP_1) | instskip(SKIP_1) | instid1(VALU_DEP_2)
	v_add_f32_e32 v4, v4, v5
	v_cvt_i32_f32_e32 v5, v6
	v_exp_f32_e32 v4, v4
	s_waitcnt_depctr 0xfff
	v_ldexp_f32 v4, v4, v5
	s_delay_alu instid0(VALU_DEP_1) | instskip(SKIP_1) | instid1(VALU_DEP_2)
	v_cndmask_b32_e32 v4, 0, v4, vcc_lo
	v_cmp_ngt_f32_e32 vcc_lo, 0xc2b17218, v1
	v_cndmask_b32_e32 v4, 0x7f800000, v4, vcc_lo
	s_delay_alu instid0(VALU_DEP_1) | instskip(NEXT) | instid1(VALU_DEP_1)
	v_add_f32_e32 v4, 1.0, v4
	v_div_scale_f32 v5, null, v4, v4, 1.0
	v_div_scale_f32 v8, vcc_lo, 1.0, v4, 1.0
	s_delay_alu instid0(VALU_DEP_2) | instskip(SKIP_2) | instid1(VALU_DEP_1)
	v_rcp_f32_e32 v6, v5
	s_waitcnt_depctr 0xfff
	v_fma_f32 v7, -v5, v6, 1.0
	v_fmac_f32_e32 v6, v7, v6
	s_delay_alu instid0(VALU_DEP_1) | instskip(NEXT) | instid1(VALU_DEP_1)
	v_mul_f32_e32 v7, v8, v6
	v_fma_f32 v9, -v5, v7, v8
	s_delay_alu instid0(VALU_DEP_1) | instskip(NEXT) | instid1(VALU_DEP_1)
	v_fmac_f32_e32 v7, v9, v6
	v_fma_f32 v5, -v5, v7, v8
	s_delay_alu instid0(VALU_DEP_1) | instskip(NEXT) | instid1(VALU_DEP_1)
	v_div_fmas_f32 v5, v5, v6, v7
	v_div_fixup_f32 v4, v5, v4, 1.0
	s_delay_alu instid0(VALU_DEP_1) | instskip(SKIP_1) | instid1(VALU_DEP_1)
	v_mul_f32_e32 v1, v1, v4
	s_waitcnt vmcnt(0)
	v_mul_f32_e32 v1, v3, v1
	s_delay_alu instid0(VALU_DEP_1)
	v_and_b32_e32 v3, 0x7fffffff, v1
	ds_store_b32 v2, v3
	s_waitcnt lgkmcnt(0)
	s_barrier
	buffer_gl0_inv
	v_cmpx_gt_u32_e32 32, v0
	s_cbranch_execz .LBB3_2
; %bb.1:
	ds_load_2addr_b32 v[3:4], v2 offset1:32
	s_waitcnt lgkmcnt(0)
	v_dual_max_f32 v4, v4, v4 :: v_dual_max_f32 v3, v3, v3
	s_delay_alu instid0(VALU_DEP_1)
	v_max_f32_e32 v3, v3, v4
	ds_store_b32 v2, v3
.LBB3_2:
	s_or_b32 exec_lo, exec_lo, s6
	s_delay_alu instid0(SALU_CYCLE_1)
	s_mov_b32 s6, exec_lo
	s_waitcnt lgkmcnt(0)
	s_barrier
	buffer_gl0_inv
	v_cmpx_gt_u32_e32 16, v0
	s_cbranch_execz .LBB3_4
; %bb.3:
	ds_load_2addr_b32 v[3:4], v2 offset1:16
	s_waitcnt lgkmcnt(0)
	v_dual_max_f32 v4, v4, v4 :: v_dual_max_f32 v3, v3, v3
	s_delay_alu instid0(VALU_DEP_1)
	v_max_f32_e32 v3, v3, v4
	ds_store_b32 v2, v3
.LBB3_4:
	s_or_b32 exec_lo, exec_lo, s6
	s_delay_alu instid0(SALU_CYCLE_1)
	s_mov_b32 s6, exec_lo
	;; [unrolled: 16-line block ×4, first 2 shown]
	s_waitcnt lgkmcnt(0)
	s_barrier
	buffer_gl0_inv
	v_cmpx_gt_u32_e32 2, v0
	s_cbranch_execz .LBB3_10
; %bb.9:
	ds_load_2addr_b32 v[3:4], v2 offset1:2
	s_waitcnt lgkmcnt(0)
	v_dual_max_f32 v4, v4, v4 :: v_dual_max_f32 v3, v3, v3
	s_delay_alu instid0(VALU_DEP_1)
	v_max_f32_e32 v3, v3, v4
	ds_store_b32 v2, v3
.LBB3_10:
	s_or_b32 exec_lo, exec_lo, s6
	v_cmp_eq_u32_e32 vcc_lo, 0, v0
	s_waitcnt lgkmcnt(0)
	s_barrier
	buffer_gl0_inv
	s_and_saveexec_b32 s6, vcc_lo
	s_cbranch_execz .LBB3_12
; %bb.11:
	v_mov_b32_e32 v3, 0
	ds_load_b32 v3, v3 offset:4
	ds_load_b32 v4, v2
	s_waitcnt lgkmcnt(0)
	v_dual_max_f32 v3, v3, v3 :: v_dual_max_f32 v4, v4, v4
	s_delay_alu instid0(VALU_DEP_1)
	v_max_f32_e32 v3, v4, v3
	ds_store_b32 v2, v3
.LBB3_12:
	s_or_b32 exec_lo, exec_lo, s6
	s_load_b64 s[6:7], s[0:1], 0x0
	s_waitcnt lgkmcnt(0)
	s_barrier
	buffer_gl0_inv
	s_and_saveexec_b32 s11, vcc_lo
	s_cbranch_execz .LBB3_16
; %bb.13:
	v_mov_b32_e32 v2, 0
	ds_load_b32 v3, v2
	s_clause 0x1
	s_load_b64 s[8:9], s[0:1], 0x18
	s_load_b64 s[0:1], s[0:1], 0x8
	s_waitcnt lgkmcnt(0)
	s_cmp_eq_u64 s[8:9], 0
	v_div_scale_f32 v4, null, 0x43e00000, 0x43e00000, v3
	s_delay_alu instid0(VALU_DEP_1) | instskip(SKIP_2) | instid1(VALU_DEP_1)
	v_rcp_f32_e32 v5, v4
	s_waitcnt_depctr 0xfff
	v_fma_f32 v6, -v4, v5, 1.0
	v_fmac_f32_e32 v5, v6, v5
	v_div_scale_f32 v6, vcc_lo, v3, 0x43e00000, v3
	s_delay_alu instid0(VALU_DEP_1) | instskip(NEXT) | instid1(VALU_DEP_1)
	v_mul_f32_e32 v7, v6, v5
	v_fma_f32 v8, -v4, v7, v6
	s_delay_alu instid0(VALU_DEP_1) | instskip(NEXT) | instid1(VALU_DEP_1)
	v_fmac_f32_e32 v7, v8, v5
	v_fma_f32 v4, -v4, v7, v6
	s_delay_alu instid0(VALU_DEP_1) | instskip(NEXT) | instid1(VALU_DEP_1)
	v_div_fmas_f32 v4, v4, v5, v7
	v_div_fixup_f32 v3, v4, 0x43e00000, v3
	s_cbranch_scc1 .LBB3_15
; %bb.14:
	s_load_b32 s8, s[8:9], 0x0
	s_delay_alu instid0(VALU_DEP_1) | instskip(SKIP_2) | instid1(VALU_DEP_1)
	v_max_f32_e32 v3, v3, v3
	s_waitcnt lgkmcnt(0)
	v_max_f32_e64 v4, s8, s8
	v_min_f32_e32 v3, v3, v4
.LBB3_15:
	s_mul_i32 s8, s5, s14
	s_delay_alu instid0(VALU_DEP_1) | instskip(SKIP_3) | instid1(VALU_DEP_1)
	v_max_f32_e32 v3, v3, v3
	s_ashr_i32 s9, s8, 31
	s_ashr_i32 s5, s4, 31
	s_lshl_b64 s[8:9], s[8:9], 2
	v_max_f32_e32 v3, 0x36924925, v3
	s_add_u32 s8, s0, s8
	s_addc_u32 s9, s1, s9
	s_lshl_b64 s[0:1], s[4:5], 2
	s_delay_alu instid0(SALU_CYCLE_1)
	s_add_u32 s0, s8, s0
	s_addc_u32 s1, s9, s1
	ds_store_b32 v2, v3
	global_store_b32 v2, v3, s[0:1]
.LBB3_16:
	s_or_b32 exec_lo, exec_lo, s11
	v_mov_b32_e32 v2, 0
	s_waitcnt lgkmcnt(0)
	s_waitcnt_vscnt null, 0x0
	s_barrier
	buffer_gl0_inv
	s_mov_b32 s0, 0x43e00000
	ds_load_b32 v2, v2
	s_waitcnt lgkmcnt(0)
	v_div_scale_f32 v3, null, v2, v2, v1
	v_div_scale_f32 v6, vcc_lo, v1, v2, v1
	s_delay_alu instid0(VALU_DEP_2) | instskip(SKIP_2) | instid1(VALU_DEP_1)
	v_rcp_f32_e32 v4, v3
	s_waitcnt_depctr 0xfff
	v_fma_f32 v5, -v3, v4, 1.0
	v_fmac_f32_e32 v4, v5, v4
	s_delay_alu instid0(VALU_DEP_1) | instskip(NEXT) | instid1(VALU_DEP_1)
	v_mul_f32_e32 v5, v6, v4
	v_fma_f32 v7, -v3, v5, v6
	s_delay_alu instid0(VALU_DEP_1) | instskip(NEXT) | instid1(VALU_DEP_1)
	v_fmac_f32_e32 v5, v7, v4
	v_fma_f32 v3, -v3, v5, v6
	s_delay_alu instid0(VALU_DEP_1) | instskip(NEXT) | instid1(VALU_DEP_1)
	v_div_fmas_f32 v3, v3, v4, v5
	v_div_fixup_f32 v1, v3, v2, v1
	v_mov_b32_e32 v2, 0x7f
	s_delay_alu instid0(VALU_DEP_2) | instskip(SKIP_1) | instid1(VALU_DEP_1)
	v_minmax_f32 v1, v1, s0, 0xc3e00000
	s_mov_b32 s0, exec_lo
	v_and_b32_e32 v3, 0x7fffffff, v1
	s_delay_alu instid0(VALU_DEP_1)
	v_cmpx_gt_u32_e32 0x43f00000, v3
	s_cbranch_execz .LBB3_22
; %bb.17:
	s_mov_b32 s1, exec_lo
                                        ; implicit-def: $vgpr2
	v_cmpx_lt_u32_e32 0x3c7fffff, v3
	s_xor_b32 s1, exec_lo, s1
; %bb.18:
	v_bfe_u32 v2, v1, 20, 1
	s_delay_alu instid0(VALU_DEP_1) | instskip(NEXT) | instid1(VALU_DEP_1)
	v_add3_u32 v2, v1, v2, 0x407ffff
	v_lshrrev_b32_e32 v2, 20, v2
; %bb.19:
	s_and_not1_saveexec_b32 s1, s1
; %bb.20:
	v_add_f32_e64 v2, 0x46800000, |v1|
; %bb.21:
	s_or_b32 exec_lo, exec_lo, s1
.LBB3_22:
	s_delay_alu instid0(SALU_CYCLE_1)
	s_or_b32 exec_lo, exec_lo, s0
	s_ashr_i32 s0, s10, 31
	s_add_u32 s1, s6, s10
	v_lshrrev_b32_e32 v1, 24, v1
	s_addc_u32 s0, s7, s0
	s_add_u32 s1, s1, s2
	s_addc_u32 s0, s0, s3
	v_add_co_u32 v0, s1, s1, v0
	v_and_or_b32 v2, 0x80, v1, v2
	v_add_co_ci_u32_e64 v1, null, s0, 0, s1
	global_store_b8 v[0:1], v2, off
	s_nop 0
	s_sendmsg sendmsg(MSG_DEALLOC_VGPRS)
	s_endpgm
	.section	.rodata,"a",@progbits
	.p2align	6, 0x0
	.amdhsa_kernel _ZN4vllm35silu_and_mul_per_block_quant_kernelIfN3c1013Float8_e4m3fnELb0ELi64EEEvPT0_PfPKT_PKfi
		.amdhsa_group_segment_fixed_size 256
		.amdhsa_private_segment_fixed_size 0
		.amdhsa_kernarg_size 296
		.amdhsa_user_sgpr_count 14
		.amdhsa_user_sgpr_dispatch_ptr 0
		.amdhsa_user_sgpr_queue_ptr 0
		.amdhsa_user_sgpr_kernarg_segment_ptr 1
		.amdhsa_user_sgpr_dispatch_id 0
		.amdhsa_user_sgpr_private_segment_size 0
		.amdhsa_wavefront_size32 1
		.amdhsa_uses_dynamic_stack 0
		.amdhsa_enable_private_segment 0
		.amdhsa_system_sgpr_workgroup_id_x 1
		.amdhsa_system_sgpr_workgroup_id_y 1
		.amdhsa_system_sgpr_workgroup_id_z 0
		.amdhsa_system_sgpr_workgroup_info 0
		.amdhsa_system_vgpr_workitem_id 0
		.amdhsa_next_free_vgpr 10
		.amdhsa_next_free_sgpr 16
		.amdhsa_reserve_vcc 1
		.amdhsa_float_round_mode_32 0
		.amdhsa_float_round_mode_16_64 0
		.amdhsa_float_denorm_mode_32 3
		.amdhsa_float_denorm_mode_16_64 3
		.amdhsa_dx10_clamp 1
		.amdhsa_ieee_mode 1
		.amdhsa_fp16_overflow 0
		.amdhsa_workgroup_processor_mode 1
		.amdhsa_memory_ordered 1
		.amdhsa_forward_progress 0
		.amdhsa_shared_vgpr_count 0
		.amdhsa_exception_fp_ieee_invalid_op 0
		.amdhsa_exception_fp_denorm_src 0
		.amdhsa_exception_fp_ieee_div_zero 0
		.amdhsa_exception_fp_ieee_overflow 0
		.amdhsa_exception_fp_ieee_underflow 0
		.amdhsa_exception_fp_ieee_inexact 0
		.amdhsa_exception_int_div_zero 0
	.end_amdhsa_kernel
	.section	.text._ZN4vllm35silu_and_mul_per_block_quant_kernelIfN3c1013Float8_e4m3fnELb0ELi64EEEvPT0_PfPKT_PKfi,"axG",@progbits,_ZN4vllm35silu_and_mul_per_block_quant_kernelIfN3c1013Float8_e4m3fnELb0ELi64EEEvPT0_PfPKT_PKfi,comdat
.Lfunc_end3:
	.size	_ZN4vllm35silu_and_mul_per_block_quant_kernelIfN3c1013Float8_e4m3fnELb0ELi64EEEvPT0_PfPKT_PKfi, .Lfunc_end3-_ZN4vllm35silu_and_mul_per_block_quant_kernelIfN3c1013Float8_e4m3fnELb0ELi64EEEvPT0_PfPKT_PKfi
                                        ; -- End function
	.section	.AMDGPU.csdata,"",@progbits
; Kernel info:
; codeLenInByte = 1424
; NumSgprs: 18
; NumVgprs: 10
; ScratchSize: 0
; MemoryBound: 0
; FloatMode: 240
; IeeeMode: 1
; LDSByteSize: 256 bytes/workgroup (compile time only)
; SGPRBlocks: 2
; VGPRBlocks: 1
; NumSGPRsForWavesPerEU: 18
; NumVGPRsForWavesPerEU: 10
; Occupancy: 16
; WaveLimiterHint : 0
; COMPUTE_PGM_RSRC2:SCRATCH_EN: 0
; COMPUTE_PGM_RSRC2:USER_SGPR: 14
; COMPUTE_PGM_RSRC2:TRAP_HANDLER: 0
; COMPUTE_PGM_RSRC2:TGID_X_EN: 1
; COMPUTE_PGM_RSRC2:TGID_Y_EN: 1
; COMPUTE_PGM_RSRC2:TGID_Z_EN: 0
; COMPUTE_PGM_RSRC2:TIDIG_COMP_CNT: 0
	.section	.text._ZN4vllm35silu_and_mul_per_block_quant_kernelIfN3c1015Float8_e4m3fnuzELb1ELi128EEEvPT0_PfPKT_PKfi,"axG",@progbits,_ZN4vllm35silu_and_mul_per_block_quant_kernelIfN3c1015Float8_e4m3fnuzELb1ELi128EEEvPT0_PfPKT_PKfi,comdat
	.protected	_ZN4vllm35silu_and_mul_per_block_quant_kernelIfN3c1015Float8_e4m3fnuzELb1ELi128EEEvPT0_PfPKT_PKfi ; -- Begin function _ZN4vllm35silu_and_mul_per_block_quant_kernelIfN3c1015Float8_e4m3fnuzELb1ELi128EEEvPT0_PfPKT_PKfi
	.globl	_ZN4vllm35silu_and_mul_per_block_quant_kernelIfN3c1015Float8_e4m3fnuzELb1ELi128EEEvPT0_PfPKT_PKfi
	.p2align	8
	.type	_ZN4vllm35silu_and_mul_per_block_quant_kernelIfN3c1015Float8_e4m3fnuzELb1ELi128EEEvPT0_PfPKT_PKfi,@function
_ZN4vllm35silu_and_mul_per_block_quant_kernelIfN3c1015Float8_e4m3fnuzELb1ELi128EEEvPT0_PfPKT_PKfi: ; @_ZN4vllm35silu_and_mul_per_block_quant_kernelIfN3c1015Float8_e4m3fnuzELb1ELi128EEEvPT0_PfPKT_PKfi
; %bb.0:
	s_clause 0x2
	s_load_b32 s4, s[0:1], 0x20
	s_load_b64 s[8:9], s[0:1], 0x10
	s_load_b32 s3, s[0:1], 0x28
	s_lshl_b32 s6, s15, 7
	v_lshlrev_b32_e32 v2, 2, v0
	s_mov_b32 s2, s15
	s_waitcnt lgkmcnt(0)
	s_mul_i32 s5, s14, s4
	s_delay_alu instid0(SALU_CYCLE_1) | instskip(SKIP_2) | instid1(SALU_CYCLE_1)
	s_lshl_b32 s10, s5, 1
	s_ashr_i32 s5, s4, 31
	s_ashr_i32 s11, s10, 31
	s_lshl_b64 s[10:11], s[10:11], 2
	s_delay_alu instid0(SALU_CYCLE_1) | instskip(SKIP_2) | instid1(SALU_CYCLE_1)
	s_add_u32 s10, s8, s10
	s_addc_u32 s11, s9, s11
	s_ashr_i32 s7, s6, 31
	s_lshl_b64 s[8:9], s[6:7], 2
	s_delay_alu instid0(SALU_CYCLE_1)
	s_add_u32 s8, s10, s8
	s_addc_u32 s9, s11, s9
	s_lshl_b64 s[10:11], s[4:5], 2
	global_load_b32 v1, v2, s[8:9]
	s_add_u32 s8, s8, s10
	s_addc_u32 s9, s9, s11
	s_mov_b32 s5, exec_lo
	s_waitcnt vmcnt(0)
	v_mul_f32_e32 v4, 0xbfb8aa3b, v1
	v_cmp_nlt_f32_e32 vcc_lo, 0x42ce8ed0, v1
	s_delay_alu instid0(VALU_DEP_2) | instskip(SKIP_1) | instid1(VALU_DEP_2)
	v_fma_f32 v5, 0xbfb8aa3b, v1, -v4
	v_rndne_f32_e32 v6, v4
	v_fmamk_f32 v5, v1, 0xb2a5705f, v5
	global_load_b32 v3, v2, s[8:9]
	v_sub_f32_e32 v4, v4, v6
	s_delay_alu instid0(VALU_DEP_1) | instskip(SKIP_1) | instid1(VALU_DEP_2)
	v_add_f32_e32 v4, v4, v5
	v_cvt_i32_f32_e32 v5, v6
	v_exp_f32_e32 v4, v4
	s_waitcnt_depctr 0xfff
	v_ldexp_f32 v4, v4, v5
	s_delay_alu instid0(VALU_DEP_1) | instskip(SKIP_1) | instid1(VALU_DEP_2)
	v_cndmask_b32_e32 v4, 0, v4, vcc_lo
	v_cmp_ngt_f32_e32 vcc_lo, 0xc2b17218, v1
	v_cndmask_b32_e32 v4, 0x7f800000, v4, vcc_lo
	s_delay_alu instid0(VALU_DEP_1) | instskip(NEXT) | instid1(VALU_DEP_1)
	v_add_f32_e32 v4, 1.0, v4
	v_div_scale_f32 v5, null, v4, v4, 1.0
	v_div_scale_f32 v8, vcc_lo, 1.0, v4, 1.0
	s_delay_alu instid0(VALU_DEP_2) | instskip(SKIP_2) | instid1(VALU_DEP_1)
	v_rcp_f32_e32 v6, v5
	s_waitcnt_depctr 0xfff
	v_fma_f32 v7, -v5, v6, 1.0
	v_fmac_f32_e32 v6, v7, v6
	s_delay_alu instid0(VALU_DEP_1) | instskip(NEXT) | instid1(VALU_DEP_1)
	v_mul_f32_e32 v7, v8, v6
	v_fma_f32 v9, -v5, v7, v8
	s_delay_alu instid0(VALU_DEP_1) | instskip(NEXT) | instid1(VALU_DEP_1)
	v_fmac_f32_e32 v7, v9, v6
	v_fma_f32 v5, -v5, v7, v8
	s_delay_alu instid0(VALU_DEP_1) | instskip(NEXT) | instid1(VALU_DEP_1)
	v_div_fmas_f32 v5, v5, v6, v7
	v_div_fixup_f32 v4, v5, v4, 1.0
	s_delay_alu instid0(VALU_DEP_1) | instskip(SKIP_1) | instid1(VALU_DEP_1)
	v_mul_f32_e32 v1, v1, v4
	s_waitcnt vmcnt(0)
	v_mul_f32_e32 v1, v3, v1
	s_delay_alu instid0(VALU_DEP_1)
	v_and_b32_e32 v3, 0x7fffffff, v1
	ds_store_b32 v2, v3
	s_waitcnt lgkmcnt(0)
	s_barrier
	buffer_gl0_inv
	v_cmpx_gt_u32_e32 64, v0
	s_cbranch_execz .LBB4_2
; %bb.1:
	ds_load_2addr_stride64_b32 v[3:4], v2 offset1:1
	s_waitcnt lgkmcnt(0)
	v_dual_max_f32 v4, v4, v4 :: v_dual_max_f32 v3, v3, v3
	s_delay_alu instid0(VALU_DEP_1)
	v_max_f32_e32 v3, v3, v4
	ds_store_b32 v2, v3
.LBB4_2:
	s_or_b32 exec_lo, exec_lo, s5
	s_delay_alu instid0(SALU_CYCLE_1)
	s_mov_b32 s5, exec_lo
	s_waitcnt lgkmcnt(0)
	s_barrier
	buffer_gl0_inv
	v_cmpx_gt_u32_e32 32, v0
	s_cbranch_execz .LBB4_4
; %bb.3:
	ds_load_2addr_b32 v[3:4], v2 offset1:32
	s_waitcnt lgkmcnt(0)
	v_dual_max_f32 v4, v4, v4 :: v_dual_max_f32 v3, v3, v3
	s_delay_alu instid0(VALU_DEP_1)
	v_max_f32_e32 v3, v3, v4
	ds_store_b32 v2, v3
.LBB4_4:
	s_or_b32 exec_lo, exec_lo, s5
	s_delay_alu instid0(SALU_CYCLE_1)
	s_mov_b32 s5, exec_lo
	s_waitcnt lgkmcnt(0)
	s_barrier
	buffer_gl0_inv
	v_cmpx_gt_u32_e32 16, v0
	s_cbranch_execz .LBB4_6
; %bb.5:
	ds_load_2addr_b32 v[3:4], v2 offset1:16
	s_waitcnt lgkmcnt(0)
	v_dual_max_f32 v4, v4, v4 :: v_dual_max_f32 v3, v3, v3
	s_delay_alu instid0(VALU_DEP_1)
	v_max_f32_e32 v3, v3, v4
	ds_store_b32 v2, v3
.LBB4_6:
	;; [unrolled: 16-line block ×5, first 2 shown]
	s_or_b32 exec_lo, exec_lo, s5
	v_cmp_eq_u32_e32 vcc_lo, 0, v0
	s_waitcnt lgkmcnt(0)
	s_barrier
	buffer_gl0_inv
	s_and_saveexec_b32 s5, vcc_lo
	s_cbranch_execz .LBB4_14
; %bb.13:
	v_mov_b32_e32 v3, 0
	ds_load_b32 v3, v3 offset:4
	ds_load_b32 v4, v2
	s_waitcnt lgkmcnt(0)
	v_dual_max_f32 v3, v3, v3 :: v_dual_max_f32 v4, v4, v4
	s_delay_alu instid0(VALU_DEP_1)
	v_max_f32_e32 v3, v4, v3
	ds_store_b32 v2, v3
.LBB4_14:
	s_or_b32 exec_lo, exec_lo, s5
	s_load_b64 s[8:9], s[0:1], 0x0
	s_ashr_i32 s15, s14, 31
	s_waitcnt lgkmcnt(0)
	s_barrier
	buffer_gl0_inv
	s_and_saveexec_b32 s5, vcc_lo
	s_cbranch_execz .LBB4_18
; %bb.15:
	v_mov_b32_e32 v2, 0
	ds_load_b32 v3, v2
	s_clause 0x1
	s_load_b64 s[10:11], s[0:1], 0x18
	s_load_b64 s[0:1], s[0:1], 0x8
	s_waitcnt lgkmcnt(0)
	s_cmp_eq_u64 s[10:11], 0
	v_div_scale_f32 v4, null, 0x43600000, 0x43600000, v3
	s_delay_alu instid0(VALU_DEP_1) | instskip(SKIP_2) | instid1(VALU_DEP_1)
	v_rcp_f32_e32 v5, v4
	s_waitcnt_depctr 0xfff
	v_fma_f32 v6, -v4, v5, 1.0
	v_fmac_f32_e32 v5, v6, v5
	v_div_scale_f32 v6, vcc_lo, v3, 0x43600000, v3
	s_delay_alu instid0(VALU_DEP_1) | instskip(NEXT) | instid1(VALU_DEP_1)
	v_mul_f32_e32 v7, v6, v5
	v_fma_f32 v8, -v4, v7, v6
	s_delay_alu instid0(VALU_DEP_1) | instskip(NEXT) | instid1(VALU_DEP_1)
	v_fmac_f32_e32 v7, v8, v5
	v_fma_f32 v4, -v4, v7, v6
	s_delay_alu instid0(VALU_DEP_1) | instskip(NEXT) | instid1(VALU_DEP_1)
	v_div_fmas_f32 v4, v4, v5, v7
	v_div_fixup_f32 v3, v4, 0x43600000, v3
	s_cbranch_scc1 .LBB4_17
; %bb.16:
	s_load_b32 s10, s[10:11], 0x0
	s_delay_alu instid0(VALU_DEP_1) | instskip(SKIP_2) | instid1(VALU_DEP_1)
	v_max_f32_e32 v3, v3, v3
	s_waitcnt lgkmcnt(0)
	v_max_f32_e64 v4, s10, s10
	v_min_f32_e32 v3, v3, v4
.LBB4_17:
	s_mul_i32 s2, s3, s2
	s_delay_alu instid0(VALU_DEP_1) | instskip(SKIP_1) | instid1(SALU_CYCLE_1)
	v_max_f32_e32 v3, v3, v3
	s_ashr_i32 s3, s2, 31
	s_lshl_b64 s[2:3], s[2:3], 2
	s_delay_alu instid0(VALU_DEP_1) | instskip(SKIP_3) | instid1(SALU_CYCLE_1)
	v_max_f32_e32 v3, 0x37124925, v3
	s_add_u32 s2, s0, s2
	s_addc_u32 s3, s1, s3
	s_lshl_b64 s[0:1], s[14:15], 2
	s_add_u32 s0, s2, s0
	s_addc_u32 s1, s3, s1
	ds_store_b32 v2, v3
	global_store_b32 v2, v3, s[0:1]
.LBB4_18:
	s_or_b32 exec_lo, exec_lo, s5
	v_mov_b32_e32 v2, 0
	s_waitcnt lgkmcnt(0)
	s_waitcnt_vscnt null, 0x0
	s_barrier
	buffer_gl0_inv
	s_mov_b32 s0, 0x43600000
	ds_load_b32 v2, v2
	s_waitcnt lgkmcnt(0)
	v_div_scale_f32 v3, null, v2, v2, v1
	v_div_scale_f32 v6, vcc_lo, v1, v2, v1
	s_delay_alu instid0(VALU_DEP_2) | instskip(SKIP_2) | instid1(VALU_DEP_1)
	v_rcp_f32_e32 v4, v3
	s_waitcnt_depctr 0xfff
	v_fma_f32 v5, -v3, v4, 1.0
	v_fmac_f32_e32 v4, v5, v4
	s_delay_alu instid0(VALU_DEP_1) | instskip(NEXT) | instid1(VALU_DEP_1)
	v_mul_f32_e32 v5, v6, v4
	v_fma_f32 v7, -v3, v5, v6
	s_delay_alu instid0(VALU_DEP_1) | instskip(NEXT) | instid1(VALU_DEP_1)
	v_fmac_f32_e32 v5, v7, v4
	v_fma_f32 v3, -v3, v5, v6
	s_delay_alu instid0(VALU_DEP_1) | instskip(NEXT) | instid1(VALU_DEP_1)
	v_div_fmas_f32 v3, v3, v4, v5
	v_div_fixup_f32 v1, v3, v2, v1
	v_mov_b32_e32 v3, 0x80
	s_delay_alu instid0(VALU_DEP_2) | instskip(SKIP_1) | instid1(VALU_DEP_1)
	v_minmax_f32 v1, v1, s0, 0xc3600000
	s_mov_b32 s0, exec_lo
	v_and_b32_e32 v2, 0x7fffffff, v1
	s_delay_alu instid0(VALU_DEP_1)
	v_cmpx_gt_u32_e32 0x43800000, v2
	s_cbranch_execz .LBB4_24
; %bb.19:
	v_cmp_lt_u32_e32 vcc_lo, 0x3bffffff, v2
	s_mov_b32 s1, 0
                                        ; implicit-def: $vgpr2
	s_and_saveexec_b32 s2, vcc_lo
	s_delay_alu instid0(SALU_CYCLE_1)
	s_xor_b32 s2, exec_lo, s2
	s_cbranch_execnz .LBB4_25
; %bb.20:
	s_or_saveexec_b32 s2, s2
                                        ; implicit-def: $sgpr3
	s_delay_alu instid0(SALU_CYCLE_1)
	s_xor_b32 exec_lo, exec_lo, s2
	s_cbranch_execnz .LBB4_26
.LBB4_21:
	s_or_b32 exec_lo, exec_lo, s2
	v_mov_b32_e32 v3, s3
	s_and_saveexec_b32 s2, s1
.LBB4_22:
	v_lshrrev_b32_e32 v1, 24, v1
	s_delay_alu instid0(VALU_DEP_1)
	v_and_or_b32 v3, 0x80, v1, v2
.LBB4_23:
	s_or_b32 exec_lo, exec_lo, s2
.LBB4_24:
	s_delay_alu instid0(SALU_CYCLE_1) | instskip(SKIP_1) | instid1(SALU_CYCLE_1)
	s_or_b32 exec_lo, exec_lo, s0
	s_mul_i32 s0, s14, s4
	s_ashr_i32 s1, s0, 31
	s_add_u32 s0, s8, s0
	s_addc_u32 s1, s9, s1
	s_add_u32 s0, s0, s6
	s_addc_u32 s1, s1, s7
	v_add_co_u32 v0, s0, s0, v0
	s_delay_alu instid0(VALU_DEP_1)
	v_add_co_ci_u32_e64 v1, null, s1, 0, s0
	global_store_b8 v[0:1], v3, off
	s_nop 0
	s_sendmsg sendmsg(MSG_DEALLOC_VGPRS)
	s_endpgm
.LBB4_25:
	v_bfe_u32 v2, v1, 20, 1
	s_mov_b32 s1, exec_lo
	s_delay_alu instid0(VALU_DEP_1) | instskip(NEXT) | instid1(VALU_DEP_1)
	v_add3_u32 v2, v1, v2, 0x487ffff
	v_lshrrev_b32_e32 v2, 20, v2
	s_or_saveexec_b32 s2, s2
                                        ; implicit-def: $sgpr3
	s_delay_alu instid0(SALU_CYCLE_1)
	s_xor_b32 exec_lo, exec_lo, s2
	s_cbranch_execz .LBB4_21
.LBB4_26:
	v_add_f32_e64 v2, 0x46000000, |v1|
	s_and_not1_b32 s1, s1, exec_lo
	s_mov_b32 s3, 0
	s_delay_alu instid0(VALU_DEP_1) | instskip(NEXT) | instid1(VALU_DEP_1)
	v_and_b32_e32 v2, 0xff, v2
	v_cmp_ne_u32_e32 vcc_lo, 0, v2
	s_and_b32 s5, vcc_lo, exec_lo
	s_delay_alu instid0(SALU_CYCLE_1)
	s_or_b32 s1, s1, s5
	s_or_b32 exec_lo, exec_lo, s2
	v_mov_b32_e32 v3, s3
	s_and_saveexec_b32 s2, s1
	s_cbranch_execnz .LBB4_22
	s_branch .LBB4_23
	.section	.rodata,"a",@progbits
	.p2align	6, 0x0
	.amdhsa_kernel _ZN4vllm35silu_and_mul_per_block_quant_kernelIfN3c1015Float8_e4m3fnuzELb1ELi128EEEvPT0_PfPKT_PKfi
		.amdhsa_group_segment_fixed_size 512
		.amdhsa_private_segment_fixed_size 0
		.amdhsa_kernarg_size 296
		.amdhsa_user_sgpr_count 14
		.amdhsa_user_sgpr_dispatch_ptr 0
		.amdhsa_user_sgpr_queue_ptr 0
		.amdhsa_user_sgpr_kernarg_segment_ptr 1
		.amdhsa_user_sgpr_dispatch_id 0
		.amdhsa_user_sgpr_private_segment_size 0
		.amdhsa_wavefront_size32 1
		.amdhsa_uses_dynamic_stack 0
		.amdhsa_enable_private_segment 0
		.amdhsa_system_sgpr_workgroup_id_x 1
		.amdhsa_system_sgpr_workgroup_id_y 1
		.amdhsa_system_sgpr_workgroup_id_z 0
		.amdhsa_system_sgpr_workgroup_info 0
		.amdhsa_system_vgpr_workitem_id 0
		.amdhsa_next_free_vgpr 10
		.amdhsa_next_free_sgpr 16
		.amdhsa_reserve_vcc 1
		.amdhsa_float_round_mode_32 0
		.amdhsa_float_round_mode_16_64 0
		.amdhsa_float_denorm_mode_32 3
		.amdhsa_float_denorm_mode_16_64 3
		.amdhsa_dx10_clamp 1
		.amdhsa_ieee_mode 1
		.amdhsa_fp16_overflow 0
		.amdhsa_workgroup_processor_mode 1
		.amdhsa_memory_ordered 1
		.amdhsa_forward_progress 0
		.amdhsa_shared_vgpr_count 0
		.amdhsa_exception_fp_ieee_invalid_op 0
		.amdhsa_exception_fp_denorm_src 0
		.amdhsa_exception_fp_ieee_div_zero 0
		.amdhsa_exception_fp_ieee_overflow 0
		.amdhsa_exception_fp_ieee_underflow 0
		.amdhsa_exception_fp_ieee_inexact 0
		.amdhsa_exception_int_div_zero 0
	.end_amdhsa_kernel
	.section	.text._ZN4vllm35silu_and_mul_per_block_quant_kernelIfN3c1015Float8_e4m3fnuzELb1ELi128EEEvPT0_PfPKT_PKfi,"axG",@progbits,_ZN4vllm35silu_and_mul_per_block_quant_kernelIfN3c1015Float8_e4m3fnuzELb1ELi128EEEvPT0_PfPKT_PKfi,comdat
.Lfunc_end4:
	.size	_ZN4vllm35silu_and_mul_per_block_quant_kernelIfN3c1015Float8_e4m3fnuzELb1ELi128EEEvPT0_PfPKT_PKfi, .Lfunc_end4-_ZN4vllm35silu_and_mul_per_block_quant_kernelIfN3c1015Float8_e4m3fnuzELb1ELi128EEEvPT0_PfPKT_PKfi
                                        ; -- End function
	.section	.AMDGPU.csdata,"",@progbits
; Kernel info:
; codeLenInByte = 1620
; NumSgprs: 18
; NumVgprs: 10
; ScratchSize: 0
; MemoryBound: 0
; FloatMode: 240
; IeeeMode: 1
; LDSByteSize: 512 bytes/workgroup (compile time only)
; SGPRBlocks: 2
; VGPRBlocks: 1
; NumSGPRsForWavesPerEU: 18
; NumVGPRsForWavesPerEU: 10
; Occupancy: 16
; WaveLimiterHint : 0
; COMPUTE_PGM_RSRC2:SCRATCH_EN: 0
; COMPUTE_PGM_RSRC2:USER_SGPR: 14
; COMPUTE_PGM_RSRC2:TRAP_HANDLER: 0
; COMPUTE_PGM_RSRC2:TGID_X_EN: 1
; COMPUTE_PGM_RSRC2:TGID_Y_EN: 1
; COMPUTE_PGM_RSRC2:TGID_Z_EN: 0
; COMPUTE_PGM_RSRC2:TIDIG_COMP_CNT: 0
	.section	.text._ZN4vllm35silu_and_mul_per_block_quant_kernelIfN3c1015Float8_e4m3fnuzELb0ELi128EEEvPT0_PfPKT_PKfi,"axG",@progbits,_ZN4vllm35silu_and_mul_per_block_quant_kernelIfN3c1015Float8_e4m3fnuzELb0ELi128EEEvPT0_PfPKT_PKfi,comdat
	.protected	_ZN4vllm35silu_and_mul_per_block_quant_kernelIfN3c1015Float8_e4m3fnuzELb0ELi128EEEvPT0_PfPKT_PKfi ; -- Begin function _ZN4vllm35silu_and_mul_per_block_quant_kernelIfN3c1015Float8_e4m3fnuzELb0ELi128EEEvPT0_PfPKT_PKfi
	.globl	_ZN4vllm35silu_and_mul_per_block_quant_kernelIfN3c1015Float8_e4m3fnuzELb0ELi128EEEvPT0_PfPKT_PKfi
	.p2align	8
	.type	_ZN4vllm35silu_and_mul_per_block_quant_kernelIfN3c1015Float8_e4m3fnuzELb0ELi128EEEvPT0_PfPKT_PKfi,@function
_ZN4vllm35silu_and_mul_per_block_quant_kernelIfN3c1015Float8_e4m3fnuzELb0ELi128EEEvPT0_PfPKT_PKfi: ; @_ZN4vllm35silu_and_mul_per_block_quant_kernelIfN3c1015Float8_e4m3fnuzELb0ELi128EEEvPT0_PfPKT_PKfi
; %bb.0:
	s_clause 0x2
	s_load_b32 s6, s[0:1], 0x20
	s_load_b64 s[8:9], s[0:1], 0x10
	s_load_b32 s5, s[0:1], 0x2c
	s_lshl_b32 s2, s15, 7
	v_lshlrev_b32_e32 v2, 2, v0
	s_mov_b32 s4, s15
	s_waitcnt lgkmcnt(0)
	s_mul_i32 s10, s14, s6
	s_ashr_i32 s7, s6, 31
	s_lshl_b32 s12, s10, 1
	s_delay_alu instid0(SALU_CYCLE_1) | instskip(NEXT) | instid1(SALU_CYCLE_1)
	s_ashr_i32 s13, s12, 31
	s_lshl_b64 s[12:13], s[12:13], 2
	s_delay_alu instid0(SALU_CYCLE_1) | instskip(SKIP_2) | instid1(SALU_CYCLE_1)
	s_add_u32 s11, s8, s12
	s_addc_u32 s12, s9, s13
	s_ashr_i32 s3, s2, 31
	s_lshl_b64 s[8:9], s[2:3], 2
	s_delay_alu instid0(SALU_CYCLE_1)
	s_add_u32 s8, s11, s8
	s_addc_u32 s9, s12, s9
	s_lshl_b64 s[6:7], s[6:7], 2
	global_load_b32 v1, v2, s[8:9]
	s_add_u32 s6, s8, s6
	s_addc_u32 s7, s9, s7
	global_load_b32 v3, v2, s[6:7]
	s_mov_b32 s6, exec_lo
	s_waitcnt vmcnt(1)
	v_mul_f32_e32 v4, 0xbfb8aa3b, v1
	v_cmp_nlt_f32_e32 vcc_lo, 0x42ce8ed0, v1
	s_delay_alu instid0(VALU_DEP_2) | instskip(SKIP_1) | instid1(VALU_DEP_1)
	v_fma_f32 v5, 0xbfb8aa3b, v1, -v4
	v_rndne_f32_e32 v6, v4
	v_dual_fmamk_f32 v5, v1, 0xb2a5705f, v5 :: v_dual_sub_f32 v4, v4, v6
	s_delay_alu instid0(VALU_DEP_1) | instskip(SKIP_1) | instid1(VALU_DEP_2)
	v_add_f32_e32 v4, v4, v5
	v_cvt_i32_f32_e32 v5, v6
	v_exp_f32_e32 v4, v4
	s_waitcnt_depctr 0xfff
	v_ldexp_f32 v4, v4, v5
	s_delay_alu instid0(VALU_DEP_1) | instskip(SKIP_1) | instid1(VALU_DEP_2)
	v_cndmask_b32_e32 v4, 0, v4, vcc_lo
	v_cmp_ngt_f32_e32 vcc_lo, 0xc2b17218, v1
	v_cndmask_b32_e32 v4, 0x7f800000, v4, vcc_lo
	s_delay_alu instid0(VALU_DEP_1) | instskip(NEXT) | instid1(VALU_DEP_1)
	v_add_f32_e32 v4, 1.0, v4
	v_div_scale_f32 v5, null, v4, v4, 1.0
	v_div_scale_f32 v8, vcc_lo, 1.0, v4, 1.0
	s_delay_alu instid0(VALU_DEP_2) | instskip(SKIP_2) | instid1(VALU_DEP_1)
	v_rcp_f32_e32 v6, v5
	s_waitcnt_depctr 0xfff
	v_fma_f32 v7, -v5, v6, 1.0
	v_fmac_f32_e32 v6, v7, v6
	s_delay_alu instid0(VALU_DEP_1) | instskip(NEXT) | instid1(VALU_DEP_1)
	v_mul_f32_e32 v7, v8, v6
	v_fma_f32 v9, -v5, v7, v8
	s_delay_alu instid0(VALU_DEP_1) | instskip(NEXT) | instid1(VALU_DEP_1)
	v_fmac_f32_e32 v7, v9, v6
	v_fma_f32 v5, -v5, v7, v8
	s_delay_alu instid0(VALU_DEP_1) | instskip(NEXT) | instid1(VALU_DEP_1)
	v_div_fmas_f32 v5, v5, v6, v7
	v_div_fixup_f32 v4, v5, v4, 1.0
	s_delay_alu instid0(VALU_DEP_1) | instskip(SKIP_1) | instid1(VALU_DEP_1)
	v_mul_f32_e32 v1, v1, v4
	s_waitcnt vmcnt(0)
	v_mul_f32_e32 v1, v3, v1
	s_delay_alu instid0(VALU_DEP_1)
	v_and_b32_e32 v3, 0x7fffffff, v1
	ds_store_b32 v2, v3
	s_waitcnt lgkmcnt(0)
	s_barrier
	buffer_gl0_inv
	v_cmpx_gt_u32_e32 64, v0
	s_cbranch_execz .LBB5_2
; %bb.1:
	ds_load_2addr_stride64_b32 v[3:4], v2 offset1:1
	s_waitcnt lgkmcnt(0)
	v_dual_max_f32 v4, v4, v4 :: v_dual_max_f32 v3, v3, v3
	s_delay_alu instid0(VALU_DEP_1)
	v_max_f32_e32 v3, v3, v4
	ds_store_b32 v2, v3
.LBB5_2:
	s_or_b32 exec_lo, exec_lo, s6
	s_delay_alu instid0(SALU_CYCLE_1)
	s_mov_b32 s6, exec_lo
	s_waitcnt lgkmcnt(0)
	s_barrier
	buffer_gl0_inv
	v_cmpx_gt_u32_e32 32, v0
	s_cbranch_execz .LBB5_4
; %bb.3:
	ds_load_2addr_b32 v[3:4], v2 offset1:32
	s_waitcnt lgkmcnt(0)
	v_dual_max_f32 v4, v4, v4 :: v_dual_max_f32 v3, v3, v3
	s_delay_alu instid0(VALU_DEP_1)
	v_max_f32_e32 v3, v3, v4
	ds_store_b32 v2, v3
.LBB5_4:
	s_or_b32 exec_lo, exec_lo, s6
	s_delay_alu instid0(SALU_CYCLE_1)
	s_mov_b32 s6, exec_lo
	s_waitcnt lgkmcnt(0)
	s_barrier
	buffer_gl0_inv
	v_cmpx_gt_u32_e32 16, v0
	s_cbranch_execz .LBB5_6
; %bb.5:
	ds_load_2addr_b32 v[3:4], v2 offset1:16
	s_waitcnt lgkmcnt(0)
	v_dual_max_f32 v4, v4, v4 :: v_dual_max_f32 v3, v3, v3
	s_delay_alu instid0(VALU_DEP_1)
	v_max_f32_e32 v3, v3, v4
	ds_store_b32 v2, v3
.LBB5_6:
	s_or_b32 exec_lo, exec_lo, s6
	s_delay_alu instid0(SALU_CYCLE_1)
	s_mov_b32 s6, exec_lo
	s_waitcnt lgkmcnt(0)
	s_barrier
	buffer_gl0_inv
	v_cmpx_gt_u32_e32 8, v0
	s_cbranch_execz .LBB5_8
; %bb.7:
	ds_load_2addr_b32 v[3:4], v2 offset1:8
	s_waitcnt lgkmcnt(0)
	v_dual_max_f32 v4, v4, v4 :: v_dual_max_f32 v3, v3, v3
	s_delay_alu instid0(VALU_DEP_1)
	v_max_f32_e32 v3, v3, v4
	ds_store_b32 v2, v3
.LBB5_8:
	s_or_b32 exec_lo, exec_lo, s6
	s_delay_alu instid0(SALU_CYCLE_1)
	s_mov_b32 s6, exec_lo
	s_waitcnt lgkmcnt(0)
	s_barrier
	buffer_gl0_inv
	v_cmpx_gt_u32_e32 4, v0
	s_cbranch_execz .LBB5_10
; %bb.9:
	ds_load_2addr_b32 v[3:4], v2 offset1:4
	s_waitcnt lgkmcnt(0)
	v_dual_max_f32 v4, v4, v4 :: v_dual_max_f32 v3, v3, v3
	s_delay_alu instid0(VALU_DEP_1)
	v_max_f32_e32 v3, v3, v4
	ds_store_b32 v2, v3
.LBB5_10:
	s_or_b32 exec_lo, exec_lo, s6
	s_delay_alu instid0(SALU_CYCLE_1)
	s_mov_b32 s6, exec_lo
	s_waitcnt lgkmcnt(0)
	s_barrier
	buffer_gl0_inv
	v_cmpx_gt_u32_e32 2, v0
	s_cbranch_execz .LBB5_12
; %bb.11:
	ds_load_2addr_b32 v[3:4], v2 offset1:2
	s_waitcnt lgkmcnt(0)
	v_dual_max_f32 v4, v4, v4 :: v_dual_max_f32 v3, v3, v3
	s_delay_alu instid0(VALU_DEP_1)
	v_max_f32_e32 v3, v3, v4
	ds_store_b32 v2, v3
.LBB5_12:
	s_or_b32 exec_lo, exec_lo, s6
	v_cmp_eq_u32_e32 vcc_lo, 0, v0
	s_waitcnt lgkmcnt(0)
	s_barrier
	buffer_gl0_inv
	s_and_saveexec_b32 s6, vcc_lo
	s_cbranch_execz .LBB5_14
; %bb.13:
	v_mov_b32_e32 v3, 0
	ds_load_b32 v3, v3 offset:4
	ds_load_b32 v4, v2
	s_waitcnt lgkmcnt(0)
	v_dual_max_f32 v3, v3, v3 :: v_dual_max_f32 v4, v4, v4
	s_delay_alu instid0(VALU_DEP_1)
	v_max_f32_e32 v3, v4, v3
	ds_store_b32 v2, v3
.LBB5_14:
	s_or_b32 exec_lo, exec_lo, s6
	s_load_b64 s[6:7], s[0:1], 0x0
	s_waitcnt lgkmcnt(0)
	s_barrier
	buffer_gl0_inv
	s_and_saveexec_b32 s11, vcc_lo
	s_cbranch_execz .LBB5_18
; %bb.15:
	v_mov_b32_e32 v2, 0
	ds_load_b32 v3, v2
	s_clause 0x1
	s_load_b64 s[8:9], s[0:1], 0x18
	s_load_b64 s[0:1], s[0:1], 0x8
	s_waitcnt lgkmcnt(0)
	s_cmp_eq_u64 s[8:9], 0
	v_div_scale_f32 v4, null, 0x43600000, 0x43600000, v3
	s_delay_alu instid0(VALU_DEP_1) | instskip(SKIP_2) | instid1(VALU_DEP_1)
	v_rcp_f32_e32 v5, v4
	s_waitcnt_depctr 0xfff
	v_fma_f32 v6, -v4, v5, 1.0
	v_fmac_f32_e32 v5, v6, v5
	v_div_scale_f32 v6, vcc_lo, v3, 0x43600000, v3
	s_delay_alu instid0(VALU_DEP_1) | instskip(NEXT) | instid1(VALU_DEP_1)
	v_mul_f32_e32 v7, v6, v5
	v_fma_f32 v8, -v4, v7, v6
	s_delay_alu instid0(VALU_DEP_1) | instskip(NEXT) | instid1(VALU_DEP_1)
	v_fmac_f32_e32 v7, v8, v5
	v_fma_f32 v4, -v4, v7, v6
	s_delay_alu instid0(VALU_DEP_1) | instskip(NEXT) | instid1(VALU_DEP_1)
	v_div_fmas_f32 v4, v4, v5, v7
	v_div_fixup_f32 v3, v4, 0x43600000, v3
	s_cbranch_scc1 .LBB5_17
; %bb.16:
	s_load_b32 s8, s[8:9], 0x0
	s_delay_alu instid0(VALU_DEP_1) | instskip(SKIP_2) | instid1(VALU_DEP_1)
	v_max_f32_e32 v3, v3, v3
	s_waitcnt lgkmcnt(0)
	v_max_f32_e64 v4, s8, s8
	v_min_f32_e32 v3, v3, v4
.LBB5_17:
	s_mul_i32 s8, s5, s14
	s_delay_alu instid0(VALU_DEP_1) | instskip(SKIP_3) | instid1(VALU_DEP_1)
	v_max_f32_e32 v3, v3, v3
	s_ashr_i32 s9, s8, 31
	s_ashr_i32 s5, s4, 31
	s_lshl_b64 s[8:9], s[8:9], 2
	v_max_f32_e32 v3, 0x37124925, v3
	s_add_u32 s8, s0, s8
	s_addc_u32 s9, s1, s9
	s_lshl_b64 s[0:1], s[4:5], 2
	s_delay_alu instid0(SALU_CYCLE_1)
	s_add_u32 s0, s8, s0
	s_addc_u32 s1, s9, s1
	ds_store_b32 v2, v3
	global_store_b32 v2, v3, s[0:1]
.LBB5_18:
	s_or_b32 exec_lo, exec_lo, s11
	v_mov_b32_e32 v2, 0
	s_waitcnt lgkmcnt(0)
	s_waitcnt_vscnt null, 0x0
	s_barrier
	buffer_gl0_inv
	s_mov_b32 s0, 0x43600000
	ds_load_b32 v2, v2
	s_waitcnt lgkmcnt(0)
	v_div_scale_f32 v3, null, v2, v2, v1
	v_div_scale_f32 v6, vcc_lo, v1, v2, v1
	s_delay_alu instid0(VALU_DEP_2) | instskip(SKIP_2) | instid1(VALU_DEP_1)
	v_rcp_f32_e32 v4, v3
	s_waitcnt_depctr 0xfff
	v_fma_f32 v5, -v3, v4, 1.0
	v_fmac_f32_e32 v4, v5, v4
	s_delay_alu instid0(VALU_DEP_1) | instskip(NEXT) | instid1(VALU_DEP_1)
	v_mul_f32_e32 v5, v6, v4
	v_fma_f32 v7, -v3, v5, v6
	s_delay_alu instid0(VALU_DEP_1) | instskip(NEXT) | instid1(VALU_DEP_1)
	v_fmac_f32_e32 v5, v7, v4
	v_fma_f32 v3, -v3, v5, v6
	s_delay_alu instid0(VALU_DEP_1) | instskip(NEXT) | instid1(VALU_DEP_1)
	v_div_fmas_f32 v3, v3, v4, v5
	v_div_fixup_f32 v1, v3, v2, v1
	v_mov_b32_e32 v3, 0x80
	s_delay_alu instid0(VALU_DEP_2) | instskip(SKIP_1) | instid1(VALU_DEP_1)
	v_minmax_f32 v1, v1, s0, 0xc3600000
	s_mov_b32 s0, exec_lo
	v_and_b32_e32 v2, 0x7fffffff, v1
	s_delay_alu instid0(VALU_DEP_1)
	v_cmpx_gt_u32_e32 0x43800000, v2
	s_cbranch_execz .LBB5_24
; %bb.19:
	v_cmp_lt_u32_e32 vcc_lo, 0x3bffffff, v2
	s_mov_b32 s1, 0
                                        ; implicit-def: $vgpr2
	s_and_saveexec_b32 s4, vcc_lo
	s_delay_alu instid0(SALU_CYCLE_1)
	s_xor_b32 s4, exec_lo, s4
	s_cbranch_execnz .LBB5_25
; %bb.20:
	s_or_saveexec_b32 s4, s4
                                        ; implicit-def: $sgpr5
	s_delay_alu instid0(SALU_CYCLE_1)
	s_xor_b32 exec_lo, exec_lo, s4
	s_cbranch_execnz .LBB5_26
.LBB5_21:
	s_or_b32 exec_lo, exec_lo, s4
	v_mov_b32_e32 v3, s5
	s_and_saveexec_b32 s4, s1
.LBB5_22:
	v_lshrrev_b32_e32 v1, 24, v1
	s_delay_alu instid0(VALU_DEP_1)
	v_and_or_b32 v3, 0x80, v1, v2
.LBB5_23:
	s_or_b32 exec_lo, exec_lo, s4
.LBB5_24:
	s_delay_alu instid0(SALU_CYCLE_1)
	s_or_b32 exec_lo, exec_lo, s0
	s_ashr_i32 s0, s10, 31
	s_add_u32 s1, s6, s10
	s_addc_u32 s0, s7, s0
	s_add_u32 s1, s1, s2
	s_addc_u32 s0, s0, s3
	v_add_co_u32 v0, s1, s1, v0
	s_delay_alu instid0(VALU_DEP_1)
	v_add_co_ci_u32_e64 v1, null, s0, 0, s1
	global_store_b8 v[0:1], v3, off
	s_nop 0
	s_sendmsg sendmsg(MSG_DEALLOC_VGPRS)
	s_endpgm
.LBB5_25:
	v_bfe_u32 v2, v1, 20, 1
	s_mov_b32 s1, exec_lo
	s_delay_alu instid0(VALU_DEP_1) | instskip(NEXT) | instid1(VALU_DEP_1)
	v_add3_u32 v2, v1, v2, 0x487ffff
	v_lshrrev_b32_e32 v2, 20, v2
	s_or_saveexec_b32 s4, s4
                                        ; implicit-def: $sgpr5
	s_delay_alu instid0(SALU_CYCLE_1)
	s_xor_b32 exec_lo, exec_lo, s4
	s_cbranch_execz .LBB5_21
.LBB5_26:
	v_add_f32_e64 v2, 0x46000000, |v1|
	s_and_not1_b32 s1, s1, exec_lo
	s_mov_b32 s5, 0
	s_delay_alu instid0(VALU_DEP_1) | instskip(NEXT) | instid1(VALU_DEP_1)
	v_and_b32_e32 v2, 0xff, v2
	v_cmp_ne_u32_e32 vcc_lo, 0, v2
	s_and_b32 s8, vcc_lo, exec_lo
	s_delay_alu instid0(SALU_CYCLE_1)
	s_or_b32 s1, s1, s8
	s_or_b32 exec_lo, exec_lo, s4
	v_mov_b32_e32 v3, s5
	s_and_saveexec_b32 s4, s1
	s_cbranch_execnz .LBB5_22
	s_branch .LBB5_23
	.section	.rodata,"a",@progbits
	.p2align	6, 0x0
	.amdhsa_kernel _ZN4vllm35silu_and_mul_per_block_quant_kernelIfN3c1015Float8_e4m3fnuzELb0ELi128EEEvPT0_PfPKT_PKfi
		.amdhsa_group_segment_fixed_size 512
		.amdhsa_private_segment_fixed_size 0
		.amdhsa_kernarg_size 296
		.amdhsa_user_sgpr_count 14
		.amdhsa_user_sgpr_dispatch_ptr 0
		.amdhsa_user_sgpr_queue_ptr 0
		.amdhsa_user_sgpr_kernarg_segment_ptr 1
		.amdhsa_user_sgpr_dispatch_id 0
		.amdhsa_user_sgpr_private_segment_size 0
		.amdhsa_wavefront_size32 1
		.amdhsa_uses_dynamic_stack 0
		.amdhsa_enable_private_segment 0
		.amdhsa_system_sgpr_workgroup_id_x 1
		.amdhsa_system_sgpr_workgroup_id_y 1
		.amdhsa_system_sgpr_workgroup_id_z 0
		.amdhsa_system_sgpr_workgroup_info 0
		.amdhsa_system_vgpr_workitem_id 0
		.amdhsa_next_free_vgpr 10
		.amdhsa_next_free_sgpr 16
		.amdhsa_reserve_vcc 1
		.amdhsa_float_round_mode_32 0
		.amdhsa_float_round_mode_16_64 0
		.amdhsa_float_denorm_mode_32 3
		.amdhsa_float_denorm_mode_16_64 3
		.amdhsa_dx10_clamp 1
		.amdhsa_ieee_mode 1
		.amdhsa_fp16_overflow 0
		.amdhsa_workgroup_processor_mode 1
		.amdhsa_memory_ordered 1
		.amdhsa_forward_progress 0
		.amdhsa_shared_vgpr_count 0
		.amdhsa_exception_fp_ieee_invalid_op 0
		.amdhsa_exception_fp_denorm_src 0
		.amdhsa_exception_fp_ieee_div_zero 0
		.amdhsa_exception_fp_ieee_overflow 0
		.amdhsa_exception_fp_ieee_underflow 0
		.amdhsa_exception_fp_ieee_inexact 0
		.amdhsa_exception_int_div_zero 0
	.end_amdhsa_kernel
	.section	.text._ZN4vllm35silu_and_mul_per_block_quant_kernelIfN3c1015Float8_e4m3fnuzELb0ELi128EEEvPT0_PfPKT_PKfi,"axG",@progbits,_ZN4vllm35silu_and_mul_per_block_quant_kernelIfN3c1015Float8_e4m3fnuzELb0ELi128EEEvPT0_PfPKT_PKfi,comdat
.Lfunc_end5:
	.size	_ZN4vllm35silu_and_mul_per_block_quant_kernelIfN3c1015Float8_e4m3fnuzELb0ELi128EEEvPT0_PfPKT_PKfi, .Lfunc_end5-_ZN4vllm35silu_and_mul_per_block_quant_kernelIfN3c1015Float8_e4m3fnuzELb0ELi128EEEvPT0_PfPKT_PKfi
                                        ; -- End function
	.section	.AMDGPU.csdata,"",@progbits
; Kernel info:
; codeLenInByte = 1616
; NumSgprs: 18
; NumVgprs: 10
; ScratchSize: 0
; MemoryBound: 0
; FloatMode: 240
; IeeeMode: 1
; LDSByteSize: 512 bytes/workgroup (compile time only)
; SGPRBlocks: 2
; VGPRBlocks: 1
; NumSGPRsForWavesPerEU: 18
; NumVGPRsForWavesPerEU: 10
; Occupancy: 16
; WaveLimiterHint : 0
; COMPUTE_PGM_RSRC2:SCRATCH_EN: 0
; COMPUTE_PGM_RSRC2:USER_SGPR: 14
; COMPUTE_PGM_RSRC2:TRAP_HANDLER: 0
; COMPUTE_PGM_RSRC2:TGID_X_EN: 1
; COMPUTE_PGM_RSRC2:TGID_Y_EN: 1
; COMPUTE_PGM_RSRC2:TGID_Z_EN: 0
; COMPUTE_PGM_RSRC2:TIDIG_COMP_CNT: 0
	.section	.text._ZN4vllm35silu_and_mul_per_block_quant_kernelIfN3c1015Float8_e4m3fnuzELb1ELi64EEEvPT0_PfPKT_PKfi,"axG",@progbits,_ZN4vllm35silu_and_mul_per_block_quant_kernelIfN3c1015Float8_e4m3fnuzELb1ELi64EEEvPT0_PfPKT_PKfi,comdat
	.protected	_ZN4vllm35silu_and_mul_per_block_quant_kernelIfN3c1015Float8_e4m3fnuzELb1ELi64EEEvPT0_PfPKT_PKfi ; -- Begin function _ZN4vllm35silu_and_mul_per_block_quant_kernelIfN3c1015Float8_e4m3fnuzELb1ELi64EEEvPT0_PfPKT_PKfi
	.globl	_ZN4vllm35silu_and_mul_per_block_quant_kernelIfN3c1015Float8_e4m3fnuzELb1ELi64EEEvPT0_PfPKT_PKfi
	.p2align	8
	.type	_ZN4vllm35silu_and_mul_per_block_quant_kernelIfN3c1015Float8_e4m3fnuzELb1ELi64EEEvPT0_PfPKT_PKfi,@function
_ZN4vllm35silu_and_mul_per_block_quant_kernelIfN3c1015Float8_e4m3fnuzELb1ELi64EEEvPT0_PfPKT_PKfi: ; @_ZN4vllm35silu_and_mul_per_block_quant_kernelIfN3c1015Float8_e4m3fnuzELb1ELi64EEEvPT0_PfPKT_PKfi
; %bb.0:
	s_clause 0x2
	s_load_b32 s4, s[0:1], 0x20
	s_load_b64 s[8:9], s[0:1], 0x10
	s_load_b32 s3, s[0:1], 0x28
	s_lshl_b32 s6, s15, 6
	v_lshlrev_b32_e32 v2, 2, v0
	s_mov_b32 s2, s15
	s_waitcnt lgkmcnt(0)
	s_mul_i32 s5, s14, s4
	s_delay_alu instid0(SALU_CYCLE_1) | instskip(SKIP_2) | instid1(SALU_CYCLE_1)
	s_lshl_b32 s10, s5, 1
	s_ashr_i32 s5, s4, 31
	s_ashr_i32 s11, s10, 31
	s_lshl_b64 s[10:11], s[10:11], 2
	s_delay_alu instid0(SALU_CYCLE_1) | instskip(SKIP_2) | instid1(SALU_CYCLE_1)
	s_add_u32 s10, s8, s10
	s_addc_u32 s11, s9, s11
	s_ashr_i32 s7, s6, 31
	s_lshl_b64 s[8:9], s[6:7], 2
	s_delay_alu instid0(SALU_CYCLE_1)
	s_add_u32 s8, s10, s8
	s_addc_u32 s9, s11, s9
	s_lshl_b64 s[10:11], s[4:5], 2
	global_load_b32 v1, v2, s[8:9]
	s_add_u32 s8, s8, s10
	s_addc_u32 s9, s9, s11
	s_mov_b32 s5, exec_lo
	s_waitcnt vmcnt(0)
	v_mul_f32_e32 v4, 0xbfb8aa3b, v1
	v_cmp_nlt_f32_e32 vcc_lo, 0x42ce8ed0, v1
	s_delay_alu instid0(VALU_DEP_2) | instskip(SKIP_1) | instid1(VALU_DEP_2)
	v_fma_f32 v5, 0xbfb8aa3b, v1, -v4
	v_rndne_f32_e32 v6, v4
	v_fmamk_f32 v5, v1, 0xb2a5705f, v5
	global_load_b32 v3, v2, s[8:9]
	v_sub_f32_e32 v4, v4, v6
	s_delay_alu instid0(VALU_DEP_1) | instskip(SKIP_1) | instid1(VALU_DEP_2)
	v_add_f32_e32 v4, v4, v5
	v_cvt_i32_f32_e32 v5, v6
	v_exp_f32_e32 v4, v4
	s_waitcnt_depctr 0xfff
	v_ldexp_f32 v4, v4, v5
	s_delay_alu instid0(VALU_DEP_1) | instskip(SKIP_1) | instid1(VALU_DEP_2)
	v_cndmask_b32_e32 v4, 0, v4, vcc_lo
	v_cmp_ngt_f32_e32 vcc_lo, 0xc2b17218, v1
	v_cndmask_b32_e32 v4, 0x7f800000, v4, vcc_lo
	s_delay_alu instid0(VALU_DEP_1) | instskip(NEXT) | instid1(VALU_DEP_1)
	v_add_f32_e32 v4, 1.0, v4
	v_div_scale_f32 v5, null, v4, v4, 1.0
	v_div_scale_f32 v8, vcc_lo, 1.0, v4, 1.0
	s_delay_alu instid0(VALU_DEP_2) | instskip(SKIP_2) | instid1(VALU_DEP_1)
	v_rcp_f32_e32 v6, v5
	s_waitcnt_depctr 0xfff
	v_fma_f32 v7, -v5, v6, 1.0
	v_fmac_f32_e32 v6, v7, v6
	s_delay_alu instid0(VALU_DEP_1) | instskip(NEXT) | instid1(VALU_DEP_1)
	v_mul_f32_e32 v7, v8, v6
	v_fma_f32 v9, -v5, v7, v8
	s_delay_alu instid0(VALU_DEP_1) | instskip(NEXT) | instid1(VALU_DEP_1)
	v_fmac_f32_e32 v7, v9, v6
	v_fma_f32 v5, -v5, v7, v8
	s_delay_alu instid0(VALU_DEP_1) | instskip(NEXT) | instid1(VALU_DEP_1)
	v_div_fmas_f32 v5, v5, v6, v7
	v_div_fixup_f32 v4, v5, v4, 1.0
	s_delay_alu instid0(VALU_DEP_1) | instskip(SKIP_1) | instid1(VALU_DEP_1)
	v_mul_f32_e32 v1, v1, v4
	s_waitcnt vmcnt(0)
	v_mul_f32_e32 v1, v3, v1
	s_delay_alu instid0(VALU_DEP_1)
	v_and_b32_e32 v3, 0x7fffffff, v1
	ds_store_b32 v2, v3
	s_waitcnt lgkmcnt(0)
	s_barrier
	buffer_gl0_inv
	v_cmpx_gt_u32_e32 32, v0
	s_cbranch_execz .LBB6_2
; %bb.1:
	ds_load_2addr_b32 v[3:4], v2 offset1:32
	s_waitcnt lgkmcnt(0)
	v_dual_max_f32 v4, v4, v4 :: v_dual_max_f32 v3, v3, v3
	s_delay_alu instid0(VALU_DEP_1)
	v_max_f32_e32 v3, v3, v4
	ds_store_b32 v2, v3
.LBB6_2:
	s_or_b32 exec_lo, exec_lo, s5
	s_delay_alu instid0(SALU_CYCLE_1)
	s_mov_b32 s5, exec_lo
	s_waitcnt lgkmcnt(0)
	s_barrier
	buffer_gl0_inv
	v_cmpx_gt_u32_e32 16, v0
	s_cbranch_execz .LBB6_4
; %bb.3:
	ds_load_2addr_b32 v[3:4], v2 offset1:16
	s_waitcnt lgkmcnt(0)
	v_dual_max_f32 v4, v4, v4 :: v_dual_max_f32 v3, v3, v3
	s_delay_alu instid0(VALU_DEP_1)
	v_max_f32_e32 v3, v3, v4
	ds_store_b32 v2, v3
.LBB6_4:
	s_or_b32 exec_lo, exec_lo, s5
	s_delay_alu instid0(SALU_CYCLE_1)
	s_mov_b32 s5, exec_lo
	;; [unrolled: 16-line block ×4, first 2 shown]
	s_waitcnt lgkmcnt(0)
	s_barrier
	buffer_gl0_inv
	v_cmpx_gt_u32_e32 2, v0
	s_cbranch_execz .LBB6_10
; %bb.9:
	ds_load_2addr_b32 v[3:4], v2 offset1:2
	s_waitcnt lgkmcnt(0)
	v_dual_max_f32 v4, v4, v4 :: v_dual_max_f32 v3, v3, v3
	s_delay_alu instid0(VALU_DEP_1)
	v_max_f32_e32 v3, v3, v4
	ds_store_b32 v2, v3
.LBB6_10:
	s_or_b32 exec_lo, exec_lo, s5
	v_cmp_eq_u32_e32 vcc_lo, 0, v0
	s_waitcnt lgkmcnt(0)
	s_barrier
	buffer_gl0_inv
	s_and_saveexec_b32 s5, vcc_lo
	s_cbranch_execz .LBB6_12
; %bb.11:
	v_mov_b32_e32 v3, 0
	ds_load_b32 v3, v3 offset:4
	ds_load_b32 v4, v2
	s_waitcnt lgkmcnt(0)
	v_dual_max_f32 v3, v3, v3 :: v_dual_max_f32 v4, v4, v4
	s_delay_alu instid0(VALU_DEP_1)
	v_max_f32_e32 v3, v4, v3
	ds_store_b32 v2, v3
.LBB6_12:
	s_or_b32 exec_lo, exec_lo, s5
	s_load_b64 s[8:9], s[0:1], 0x0
	s_ashr_i32 s15, s14, 31
	s_waitcnt lgkmcnt(0)
	s_barrier
	buffer_gl0_inv
	s_and_saveexec_b32 s5, vcc_lo
	s_cbranch_execz .LBB6_16
; %bb.13:
	v_mov_b32_e32 v2, 0
	ds_load_b32 v3, v2
	s_clause 0x1
	s_load_b64 s[10:11], s[0:1], 0x18
	s_load_b64 s[0:1], s[0:1], 0x8
	s_waitcnt lgkmcnt(0)
	s_cmp_eq_u64 s[10:11], 0
	v_div_scale_f32 v4, null, 0x43600000, 0x43600000, v3
	s_delay_alu instid0(VALU_DEP_1) | instskip(SKIP_2) | instid1(VALU_DEP_1)
	v_rcp_f32_e32 v5, v4
	s_waitcnt_depctr 0xfff
	v_fma_f32 v6, -v4, v5, 1.0
	v_fmac_f32_e32 v5, v6, v5
	v_div_scale_f32 v6, vcc_lo, v3, 0x43600000, v3
	s_delay_alu instid0(VALU_DEP_1) | instskip(NEXT) | instid1(VALU_DEP_1)
	v_mul_f32_e32 v7, v6, v5
	v_fma_f32 v8, -v4, v7, v6
	s_delay_alu instid0(VALU_DEP_1) | instskip(NEXT) | instid1(VALU_DEP_1)
	v_fmac_f32_e32 v7, v8, v5
	v_fma_f32 v4, -v4, v7, v6
	s_delay_alu instid0(VALU_DEP_1) | instskip(NEXT) | instid1(VALU_DEP_1)
	v_div_fmas_f32 v4, v4, v5, v7
	v_div_fixup_f32 v3, v4, 0x43600000, v3
	s_cbranch_scc1 .LBB6_15
; %bb.14:
	s_load_b32 s10, s[10:11], 0x0
	s_delay_alu instid0(VALU_DEP_1) | instskip(SKIP_2) | instid1(VALU_DEP_1)
	v_max_f32_e32 v3, v3, v3
	s_waitcnt lgkmcnt(0)
	v_max_f32_e64 v4, s10, s10
	v_min_f32_e32 v3, v3, v4
.LBB6_15:
	s_mul_i32 s2, s3, s2
	s_delay_alu instid0(VALU_DEP_1) | instskip(SKIP_1) | instid1(SALU_CYCLE_1)
	v_max_f32_e32 v3, v3, v3
	s_ashr_i32 s3, s2, 31
	s_lshl_b64 s[2:3], s[2:3], 2
	s_delay_alu instid0(VALU_DEP_1) | instskip(SKIP_3) | instid1(SALU_CYCLE_1)
	v_max_f32_e32 v3, 0x37124925, v3
	s_add_u32 s2, s0, s2
	s_addc_u32 s3, s1, s3
	s_lshl_b64 s[0:1], s[14:15], 2
	s_add_u32 s0, s2, s0
	s_addc_u32 s1, s3, s1
	ds_store_b32 v2, v3
	global_store_b32 v2, v3, s[0:1]
.LBB6_16:
	s_or_b32 exec_lo, exec_lo, s5
	v_mov_b32_e32 v2, 0
	s_waitcnt lgkmcnt(0)
	s_waitcnt_vscnt null, 0x0
	s_barrier
	buffer_gl0_inv
	s_mov_b32 s0, 0x43600000
	ds_load_b32 v2, v2
	s_waitcnt lgkmcnt(0)
	v_div_scale_f32 v3, null, v2, v2, v1
	v_div_scale_f32 v6, vcc_lo, v1, v2, v1
	s_delay_alu instid0(VALU_DEP_2) | instskip(SKIP_2) | instid1(VALU_DEP_1)
	v_rcp_f32_e32 v4, v3
	s_waitcnt_depctr 0xfff
	v_fma_f32 v5, -v3, v4, 1.0
	v_fmac_f32_e32 v4, v5, v4
	s_delay_alu instid0(VALU_DEP_1) | instskip(NEXT) | instid1(VALU_DEP_1)
	v_mul_f32_e32 v5, v6, v4
	v_fma_f32 v7, -v3, v5, v6
	s_delay_alu instid0(VALU_DEP_1) | instskip(NEXT) | instid1(VALU_DEP_1)
	v_fmac_f32_e32 v5, v7, v4
	v_fma_f32 v3, -v3, v5, v6
	s_delay_alu instid0(VALU_DEP_1) | instskip(NEXT) | instid1(VALU_DEP_1)
	v_div_fmas_f32 v3, v3, v4, v5
	v_div_fixup_f32 v1, v3, v2, v1
	v_mov_b32_e32 v3, 0x80
	s_delay_alu instid0(VALU_DEP_2) | instskip(SKIP_1) | instid1(VALU_DEP_1)
	v_minmax_f32 v1, v1, s0, 0xc3600000
	s_mov_b32 s0, exec_lo
	v_and_b32_e32 v2, 0x7fffffff, v1
	s_delay_alu instid0(VALU_DEP_1)
	v_cmpx_gt_u32_e32 0x43800000, v2
	s_cbranch_execz .LBB6_22
; %bb.17:
	v_cmp_lt_u32_e32 vcc_lo, 0x3bffffff, v2
	s_mov_b32 s1, 0
                                        ; implicit-def: $vgpr2
	s_and_saveexec_b32 s2, vcc_lo
	s_delay_alu instid0(SALU_CYCLE_1)
	s_xor_b32 s2, exec_lo, s2
	s_cbranch_execnz .LBB6_23
; %bb.18:
	s_or_saveexec_b32 s2, s2
                                        ; implicit-def: $sgpr3
	s_delay_alu instid0(SALU_CYCLE_1)
	s_xor_b32 exec_lo, exec_lo, s2
	s_cbranch_execnz .LBB6_24
.LBB6_19:
	s_or_b32 exec_lo, exec_lo, s2
	v_mov_b32_e32 v3, s3
	s_and_saveexec_b32 s2, s1
.LBB6_20:
	v_lshrrev_b32_e32 v1, 24, v1
	s_delay_alu instid0(VALU_DEP_1)
	v_and_or_b32 v3, 0x80, v1, v2
.LBB6_21:
	s_or_b32 exec_lo, exec_lo, s2
.LBB6_22:
	s_delay_alu instid0(SALU_CYCLE_1) | instskip(SKIP_1) | instid1(SALU_CYCLE_1)
	s_or_b32 exec_lo, exec_lo, s0
	s_mul_i32 s0, s14, s4
	s_ashr_i32 s1, s0, 31
	s_add_u32 s0, s8, s0
	s_addc_u32 s1, s9, s1
	s_add_u32 s0, s0, s6
	s_addc_u32 s1, s1, s7
	v_add_co_u32 v0, s0, s0, v0
	s_delay_alu instid0(VALU_DEP_1)
	v_add_co_ci_u32_e64 v1, null, s1, 0, s0
	global_store_b8 v[0:1], v3, off
	s_nop 0
	s_sendmsg sendmsg(MSG_DEALLOC_VGPRS)
	s_endpgm
.LBB6_23:
	v_bfe_u32 v2, v1, 20, 1
	s_mov_b32 s1, exec_lo
	s_delay_alu instid0(VALU_DEP_1) | instskip(NEXT) | instid1(VALU_DEP_1)
	v_add3_u32 v2, v1, v2, 0x487ffff
	v_lshrrev_b32_e32 v2, 20, v2
	s_or_saveexec_b32 s2, s2
                                        ; implicit-def: $sgpr3
	s_delay_alu instid0(SALU_CYCLE_1)
	s_xor_b32 exec_lo, exec_lo, s2
	s_cbranch_execz .LBB6_19
.LBB6_24:
	v_add_f32_e64 v2, 0x46000000, |v1|
	s_and_not1_b32 s1, s1, exec_lo
	s_mov_b32 s3, 0
	s_delay_alu instid0(VALU_DEP_1) | instskip(NEXT) | instid1(VALU_DEP_1)
	v_and_b32_e32 v2, 0xff, v2
	v_cmp_ne_u32_e32 vcc_lo, 0, v2
	s_and_b32 s5, vcc_lo, exec_lo
	s_delay_alu instid0(SALU_CYCLE_1)
	s_or_b32 s1, s1, s5
	s_or_b32 exec_lo, exec_lo, s2
	v_mov_b32_e32 v3, s3
	s_and_saveexec_b32 s2, s1
	s_cbranch_execnz .LBB6_20
	s_branch .LBB6_21
	.section	.rodata,"a",@progbits
	.p2align	6, 0x0
	.amdhsa_kernel _ZN4vllm35silu_and_mul_per_block_quant_kernelIfN3c1015Float8_e4m3fnuzELb1ELi64EEEvPT0_PfPKT_PKfi
		.amdhsa_group_segment_fixed_size 256
		.amdhsa_private_segment_fixed_size 0
		.amdhsa_kernarg_size 296
		.amdhsa_user_sgpr_count 14
		.amdhsa_user_sgpr_dispatch_ptr 0
		.amdhsa_user_sgpr_queue_ptr 0
		.amdhsa_user_sgpr_kernarg_segment_ptr 1
		.amdhsa_user_sgpr_dispatch_id 0
		.amdhsa_user_sgpr_private_segment_size 0
		.amdhsa_wavefront_size32 1
		.amdhsa_uses_dynamic_stack 0
		.amdhsa_enable_private_segment 0
		.amdhsa_system_sgpr_workgroup_id_x 1
		.amdhsa_system_sgpr_workgroup_id_y 1
		.amdhsa_system_sgpr_workgroup_id_z 0
		.amdhsa_system_sgpr_workgroup_info 0
		.amdhsa_system_vgpr_workitem_id 0
		.amdhsa_next_free_vgpr 10
		.amdhsa_next_free_sgpr 16
		.amdhsa_reserve_vcc 1
		.amdhsa_float_round_mode_32 0
		.amdhsa_float_round_mode_16_64 0
		.amdhsa_float_denorm_mode_32 3
		.amdhsa_float_denorm_mode_16_64 3
		.amdhsa_dx10_clamp 1
		.amdhsa_ieee_mode 1
		.amdhsa_fp16_overflow 0
		.amdhsa_workgroup_processor_mode 1
		.amdhsa_memory_ordered 1
		.amdhsa_forward_progress 0
		.amdhsa_shared_vgpr_count 0
		.amdhsa_exception_fp_ieee_invalid_op 0
		.amdhsa_exception_fp_denorm_src 0
		.amdhsa_exception_fp_ieee_div_zero 0
		.amdhsa_exception_fp_ieee_overflow 0
		.amdhsa_exception_fp_ieee_underflow 0
		.amdhsa_exception_fp_ieee_inexact 0
		.amdhsa_exception_int_div_zero 0
	.end_amdhsa_kernel
	.section	.text._ZN4vllm35silu_and_mul_per_block_quant_kernelIfN3c1015Float8_e4m3fnuzELb1ELi64EEEvPT0_PfPKT_PKfi,"axG",@progbits,_ZN4vllm35silu_and_mul_per_block_quant_kernelIfN3c1015Float8_e4m3fnuzELb1ELi64EEEvPT0_PfPKT_PKfi,comdat
.Lfunc_end6:
	.size	_ZN4vllm35silu_and_mul_per_block_quant_kernelIfN3c1015Float8_e4m3fnuzELb1ELi64EEEvPT0_PfPKT_PKfi, .Lfunc_end6-_ZN4vllm35silu_and_mul_per_block_quant_kernelIfN3c1015Float8_e4m3fnuzELb1ELi64EEEvPT0_PfPKT_PKfi
                                        ; -- End function
	.section	.AMDGPU.csdata,"",@progbits
; Kernel info:
; codeLenInByte = 1548
; NumSgprs: 18
; NumVgprs: 10
; ScratchSize: 0
; MemoryBound: 0
; FloatMode: 240
; IeeeMode: 1
; LDSByteSize: 256 bytes/workgroup (compile time only)
; SGPRBlocks: 2
; VGPRBlocks: 1
; NumSGPRsForWavesPerEU: 18
; NumVGPRsForWavesPerEU: 10
; Occupancy: 16
; WaveLimiterHint : 0
; COMPUTE_PGM_RSRC2:SCRATCH_EN: 0
; COMPUTE_PGM_RSRC2:USER_SGPR: 14
; COMPUTE_PGM_RSRC2:TRAP_HANDLER: 0
; COMPUTE_PGM_RSRC2:TGID_X_EN: 1
; COMPUTE_PGM_RSRC2:TGID_Y_EN: 1
; COMPUTE_PGM_RSRC2:TGID_Z_EN: 0
; COMPUTE_PGM_RSRC2:TIDIG_COMP_CNT: 0
	.section	.text._ZN4vllm35silu_and_mul_per_block_quant_kernelIfN3c1015Float8_e4m3fnuzELb0ELi64EEEvPT0_PfPKT_PKfi,"axG",@progbits,_ZN4vllm35silu_and_mul_per_block_quant_kernelIfN3c1015Float8_e4m3fnuzELb0ELi64EEEvPT0_PfPKT_PKfi,comdat
	.protected	_ZN4vllm35silu_and_mul_per_block_quant_kernelIfN3c1015Float8_e4m3fnuzELb0ELi64EEEvPT0_PfPKT_PKfi ; -- Begin function _ZN4vllm35silu_and_mul_per_block_quant_kernelIfN3c1015Float8_e4m3fnuzELb0ELi64EEEvPT0_PfPKT_PKfi
	.globl	_ZN4vllm35silu_and_mul_per_block_quant_kernelIfN3c1015Float8_e4m3fnuzELb0ELi64EEEvPT0_PfPKT_PKfi
	.p2align	8
	.type	_ZN4vllm35silu_and_mul_per_block_quant_kernelIfN3c1015Float8_e4m3fnuzELb0ELi64EEEvPT0_PfPKT_PKfi,@function
_ZN4vllm35silu_and_mul_per_block_quant_kernelIfN3c1015Float8_e4m3fnuzELb0ELi64EEEvPT0_PfPKT_PKfi: ; @_ZN4vllm35silu_and_mul_per_block_quant_kernelIfN3c1015Float8_e4m3fnuzELb0ELi64EEEvPT0_PfPKT_PKfi
; %bb.0:
	s_clause 0x2
	s_load_b32 s6, s[0:1], 0x20
	s_load_b64 s[8:9], s[0:1], 0x10
	s_load_b32 s5, s[0:1], 0x2c
	s_lshl_b32 s2, s15, 6
	v_lshlrev_b32_e32 v2, 2, v0
	s_mov_b32 s4, s15
	s_waitcnt lgkmcnt(0)
	s_mul_i32 s10, s14, s6
	s_ashr_i32 s7, s6, 31
	s_lshl_b32 s12, s10, 1
	s_delay_alu instid0(SALU_CYCLE_1) | instskip(NEXT) | instid1(SALU_CYCLE_1)
	s_ashr_i32 s13, s12, 31
	s_lshl_b64 s[12:13], s[12:13], 2
	s_delay_alu instid0(SALU_CYCLE_1) | instskip(SKIP_2) | instid1(SALU_CYCLE_1)
	s_add_u32 s11, s8, s12
	s_addc_u32 s12, s9, s13
	s_ashr_i32 s3, s2, 31
	s_lshl_b64 s[8:9], s[2:3], 2
	s_delay_alu instid0(SALU_CYCLE_1)
	s_add_u32 s8, s11, s8
	s_addc_u32 s9, s12, s9
	s_lshl_b64 s[6:7], s[6:7], 2
	global_load_b32 v1, v2, s[8:9]
	s_add_u32 s6, s8, s6
	s_addc_u32 s7, s9, s7
	global_load_b32 v3, v2, s[6:7]
	s_mov_b32 s6, exec_lo
	s_waitcnt vmcnt(1)
	v_mul_f32_e32 v4, 0xbfb8aa3b, v1
	v_cmp_nlt_f32_e32 vcc_lo, 0x42ce8ed0, v1
	s_delay_alu instid0(VALU_DEP_2) | instskip(SKIP_1) | instid1(VALU_DEP_1)
	v_fma_f32 v5, 0xbfb8aa3b, v1, -v4
	v_rndne_f32_e32 v6, v4
	v_dual_fmamk_f32 v5, v1, 0xb2a5705f, v5 :: v_dual_sub_f32 v4, v4, v6
	s_delay_alu instid0(VALU_DEP_1) | instskip(SKIP_1) | instid1(VALU_DEP_2)
	v_add_f32_e32 v4, v4, v5
	v_cvt_i32_f32_e32 v5, v6
	v_exp_f32_e32 v4, v4
	s_waitcnt_depctr 0xfff
	v_ldexp_f32 v4, v4, v5
	s_delay_alu instid0(VALU_DEP_1) | instskip(SKIP_1) | instid1(VALU_DEP_2)
	v_cndmask_b32_e32 v4, 0, v4, vcc_lo
	v_cmp_ngt_f32_e32 vcc_lo, 0xc2b17218, v1
	v_cndmask_b32_e32 v4, 0x7f800000, v4, vcc_lo
	s_delay_alu instid0(VALU_DEP_1) | instskip(NEXT) | instid1(VALU_DEP_1)
	v_add_f32_e32 v4, 1.0, v4
	v_div_scale_f32 v5, null, v4, v4, 1.0
	v_div_scale_f32 v8, vcc_lo, 1.0, v4, 1.0
	s_delay_alu instid0(VALU_DEP_2) | instskip(SKIP_2) | instid1(VALU_DEP_1)
	v_rcp_f32_e32 v6, v5
	s_waitcnt_depctr 0xfff
	v_fma_f32 v7, -v5, v6, 1.0
	v_fmac_f32_e32 v6, v7, v6
	s_delay_alu instid0(VALU_DEP_1) | instskip(NEXT) | instid1(VALU_DEP_1)
	v_mul_f32_e32 v7, v8, v6
	v_fma_f32 v9, -v5, v7, v8
	s_delay_alu instid0(VALU_DEP_1) | instskip(NEXT) | instid1(VALU_DEP_1)
	v_fmac_f32_e32 v7, v9, v6
	v_fma_f32 v5, -v5, v7, v8
	s_delay_alu instid0(VALU_DEP_1) | instskip(NEXT) | instid1(VALU_DEP_1)
	v_div_fmas_f32 v5, v5, v6, v7
	v_div_fixup_f32 v4, v5, v4, 1.0
	s_delay_alu instid0(VALU_DEP_1) | instskip(SKIP_1) | instid1(VALU_DEP_1)
	v_mul_f32_e32 v1, v1, v4
	s_waitcnt vmcnt(0)
	v_mul_f32_e32 v1, v3, v1
	s_delay_alu instid0(VALU_DEP_1)
	v_and_b32_e32 v3, 0x7fffffff, v1
	ds_store_b32 v2, v3
	s_waitcnt lgkmcnt(0)
	s_barrier
	buffer_gl0_inv
	v_cmpx_gt_u32_e32 32, v0
	s_cbranch_execz .LBB7_2
; %bb.1:
	ds_load_2addr_b32 v[3:4], v2 offset1:32
	s_waitcnt lgkmcnt(0)
	v_dual_max_f32 v4, v4, v4 :: v_dual_max_f32 v3, v3, v3
	s_delay_alu instid0(VALU_DEP_1)
	v_max_f32_e32 v3, v3, v4
	ds_store_b32 v2, v3
.LBB7_2:
	s_or_b32 exec_lo, exec_lo, s6
	s_delay_alu instid0(SALU_CYCLE_1)
	s_mov_b32 s6, exec_lo
	s_waitcnt lgkmcnt(0)
	s_barrier
	buffer_gl0_inv
	v_cmpx_gt_u32_e32 16, v0
	s_cbranch_execz .LBB7_4
; %bb.3:
	ds_load_2addr_b32 v[3:4], v2 offset1:16
	s_waitcnt lgkmcnt(0)
	v_dual_max_f32 v4, v4, v4 :: v_dual_max_f32 v3, v3, v3
	s_delay_alu instid0(VALU_DEP_1)
	v_max_f32_e32 v3, v3, v4
	ds_store_b32 v2, v3
.LBB7_4:
	s_or_b32 exec_lo, exec_lo, s6
	s_delay_alu instid0(SALU_CYCLE_1)
	s_mov_b32 s6, exec_lo
	;; [unrolled: 16-line block ×4, first 2 shown]
	s_waitcnt lgkmcnt(0)
	s_barrier
	buffer_gl0_inv
	v_cmpx_gt_u32_e32 2, v0
	s_cbranch_execz .LBB7_10
; %bb.9:
	ds_load_2addr_b32 v[3:4], v2 offset1:2
	s_waitcnt lgkmcnt(0)
	v_dual_max_f32 v4, v4, v4 :: v_dual_max_f32 v3, v3, v3
	s_delay_alu instid0(VALU_DEP_1)
	v_max_f32_e32 v3, v3, v4
	ds_store_b32 v2, v3
.LBB7_10:
	s_or_b32 exec_lo, exec_lo, s6
	v_cmp_eq_u32_e32 vcc_lo, 0, v0
	s_waitcnt lgkmcnt(0)
	s_barrier
	buffer_gl0_inv
	s_and_saveexec_b32 s6, vcc_lo
	s_cbranch_execz .LBB7_12
; %bb.11:
	v_mov_b32_e32 v3, 0
	ds_load_b32 v3, v3 offset:4
	ds_load_b32 v4, v2
	s_waitcnt lgkmcnt(0)
	v_dual_max_f32 v3, v3, v3 :: v_dual_max_f32 v4, v4, v4
	s_delay_alu instid0(VALU_DEP_1)
	v_max_f32_e32 v3, v4, v3
	ds_store_b32 v2, v3
.LBB7_12:
	s_or_b32 exec_lo, exec_lo, s6
	s_load_b64 s[6:7], s[0:1], 0x0
	s_waitcnt lgkmcnt(0)
	s_barrier
	buffer_gl0_inv
	s_and_saveexec_b32 s11, vcc_lo
	s_cbranch_execz .LBB7_16
; %bb.13:
	v_mov_b32_e32 v2, 0
	ds_load_b32 v3, v2
	s_clause 0x1
	s_load_b64 s[8:9], s[0:1], 0x18
	s_load_b64 s[0:1], s[0:1], 0x8
	s_waitcnt lgkmcnt(0)
	s_cmp_eq_u64 s[8:9], 0
	v_div_scale_f32 v4, null, 0x43600000, 0x43600000, v3
	s_delay_alu instid0(VALU_DEP_1) | instskip(SKIP_2) | instid1(VALU_DEP_1)
	v_rcp_f32_e32 v5, v4
	s_waitcnt_depctr 0xfff
	v_fma_f32 v6, -v4, v5, 1.0
	v_fmac_f32_e32 v5, v6, v5
	v_div_scale_f32 v6, vcc_lo, v3, 0x43600000, v3
	s_delay_alu instid0(VALU_DEP_1) | instskip(NEXT) | instid1(VALU_DEP_1)
	v_mul_f32_e32 v7, v6, v5
	v_fma_f32 v8, -v4, v7, v6
	s_delay_alu instid0(VALU_DEP_1) | instskip(NEXT) | instid1(VALU_DEP_1)
	v_fmac_f32_e32 v7, v8, v5
	v_fma_f32 v4, -v4, v7, v6
	s_delay_alu instid0(VALU_DEP_1) | instskip(NEXT) | instid1(VALU_DEP_1)
	v_div_fmas_f32 v4, v4, v5, v7
	v_div_fixup_f32 v3, v4, 0x43600000, v3
	s_cbranch_scc1 .LBB7_15
; %bb.14:
	s_load_b32 s8, s[8:9], 0x0
	s_delay_alu instid0(VALU_DEP_1) | instskip(SKIP_2) | instid1(VALU_DEP_1)
	v_max_f32_e32 v3, v3, v3
	s_waitcnt lgkmcnt(0)
	v_max_f32_e64 v4, s8, s8
	v_min_f32_e32 v3, v3, v4
.LBB7_15:
	s_mul_i32 s8, s5, s14
	s_delay_alu instid0(VALU_DEP_1) | instskip(SKIP_3) | instid1(VALU_DEP_1)
	v_max_f32_e32 v3, v3, v3
	s_ashr_i32 s9, s8, 31
	s_ashr_i32 s5, s4, 31
	s_lshl_b64 s[8:9], s[8:9], 2
	v_max_f32_e32 v3, 0x37124925, v3
	s_add_u32 s8, s0, s8
	s_addc_u32 s9, s1, s9
	s_lshl_b64 s[0:1], s[4:5], 2
	s_delay_alu instid0(SALU_CYCLE_1)
	s_add_u32 s0, s8, s0
	s_addc_u32 s1, s9, s1
	ds_store_b32 v2, v3
	global_store_b32 v2, v3, s[0:1]
.LBB7_16:
	s_or_b32 exec_lo, exec_lo, s11
	v_mov_b32_e32 v2, 0
	s_waitcnt lgkmcnt(0)
	s_waitcnt_vscnt null, 0x0
	s_barrier
	buffer_gl0_inv
	s_mov_b32 s0, 0x43600000
	ds_load_b32 v2, v2
	s_waitcnt lgkmcnt(0)
	v_div_scale_f32 v3, null, v2, v2, v1
	v_div_scale_f32 v6, vcc_lo, v1, v2, v1
	s_delay_alu instid0(VALU_DEP_2) | instskip(SKIP_2) | instid1(VALU_DEP_1)
	v_rcp_f32_e32 v4, v3
	s_waitcnt_depctr 0xfff
	v_fma_f32 v5, -v3, v4, 1.0
	v_fmac_f32_e32 v4, v5, v4
	s_delay_alu instid0(VALU_DEP_1) | instskip(NEXT) | instid1(VALU_DEP_1)
	v_mul_f32_e32 v5, v6, v4
	v_fma_f32 v7, -v3, v5, v6
	s_delay_alu instid0(VALU_DEP_1) | instskip(NEXT) | instid1(VALU_DEP_1)
	v_fmac_f32_e32 v5, v7, v4
	v_fma_f32 v3, -v3, v5, v6
	s_delay_alu instid0(VALU_DEP_1) | instskip(NEXT) | instid1(VALU_DEP_1)
	v_div_fmas_f32 v3, v3, v4, v5
	v_div_fixup_f32 v1, v3, v2, v1
	v_mov_b32_e32 v3, 0x80
	s_delay_alu instid0(VALU_DEP_2) | instskip(SKIP_1) | instid1(VALU_DEP_1)
	v_minmax_f32 v1, v1, s0, 0xc3600000
	s_mov_b32 s0, exec_lo
	v_and_b32_e32 v2, 0x7fffffff, v1
	s_delay_alu instid0(VALU_DEP_1)
	v_cmpx_gt_u32_e32 0x43800000, v2
	s_cbranch_execz .LBB7_22
; %bb.17:
	v_cmp_lt_u32_e32 vcc_lo, 0x3bffffff, v2
	s_mov_b32 s1, 0
                                        ; implicit-def: $vgpr2
	s_and_saveexec_b32 s4, vcc_lo
	s_delay_alu instid0(SALU_CYCLE_1)
	s_xor_b32 s4, exec_lo, s4
	s_cbranch_execnz .LBB7_23
; %bb.18:
	s_or_saveexec_b32 s4, s4
                                        ; implicit-def: $sgpr5
	s_delay_alu instid0(SALU_CYCLE_1)
	s_xor_b32 exec_lo, exec_lo, s4
	s_cbranch_execnz .LBB7_24
.LBB7_19:
	s_or_b32 exec_lo, exec_lo, s4
	v_mov_b32_e32 v3, s5
	s_and_saveexec_b32 s4, s1
.LBB7_20:
	v_lshrrev_b32_e32 v1, 24, v1
	s_delay_alu instid0(VALU_DEP_1)
	v_and_or_b32 v3, 0x80, v1, v2
.LBB7_21:
	s_or_b32 exec_lo, exec_lo, s4
.LBB7_22:
	s_delay_alu instid0(SALU_CYCLE_1)
	s_or_b32 exec_lo, exec_lo, s0
	s_ashr_i32 s0, s10, 31
	s_add_u32 s1, s6, s10
	s_addc_u32 s0, s7, s0
	s_add_u32 s1, s1, s2
	s_addc_u32 s0, s0, s3
	v_add_co_u32 v0, s1, s1, v0
	s_delay_alu instid0(VALU_DEP_1)
	v_add_co_ci_u32_e64 v1, null, s0, 0, s1
	global_store_b8 v[0:1], v3, off
	s_nop 0
	s_sendmsg sendmsg(MSG_DEALLOC_VGPRS)
	s_endpgm
.LBB7_23:
	v_bfe_u32 v2, v1, 20, 1
	s_mov_b32 s1, exec_lo
	s_delay_alu instid0(VALU_DEP_1) | instskip(NEXT) | instid1(VALU_DEP_1)
	v_add3_u32 v2, v1, v2, 0x487ffff
	v_lshrrev_b32_e32 v2, 20, v2
	s_or_saveexec_b32 s4, s4
                                        ; implicit-def: $sgpr5
	s_delay_alu instid0(SALU_CYCLE_1)
	s_xor_b32 exec_lo, exec_lo, s4
	s_cbranch_execz .LBB7_19
.LBB7_24:
	v_add_f32_e64 v2, 0x46000000, |v1|
	s_and_not1_b32 s1, s1, exec_lo
	s_mov_b32 s5, 0
	s_delay_alu instid0(VALU_DEP_1) | instskip(NEXT) | instid1(VALU_DEP_1)
	v_and_b32_e32 v2, 0xff, v2
	v_cmp_ne_u32_e32 vcc_lo, 0, v2
	s_and_b32 s8, vcc_lo, exec_lo
	s_delay_alu instid0(SALU_CYCLE_1)
	s_or_b32 s1, s1, s8
	s_or_b32 exec_lo, exec_lo, s4
	v_mov_b32_e32 v3, s5
	s_and_saveexec_b32 s4, s1
	s_cbranch_execnz .LBB7_20
	s_branch .LBB7_21
	.section	.rodata,"a",@progbits
	.p2align	6, 0x0
	.amdhsa_kernel _ZN4vllm35silu_and_mul_per_block_quant_kernelIfN3c1015Float8_e4m3fnuzELb0ELi64EEEvPT0_PfPKT_PKfi
		.amdhsa_group_segment_fixed_size 256
		.amdhsa_private_segment_fixed_size 0
		.amdhsa_kernarg_size 296
		.amdhsa_user_sgpr_count 14
		.amdhsa_user_sgpr_dispatch_ptr 0
		.amdhsa_user_sgpr_queue_ptr 0
		.amdhsa_user_sgpr_kernarg_segment_ptr 1
		.amdhsa_user_sgpr_dispatch_id 0
		.amdhsa_user_sgpr_private_segment_size 0
		.amdhsa_wavefront_size32 1
		.amdhsa_uses_dynamic_stack 0
		.amdhsa_enable_private_segment 0
		.amdhsa_system_sgpr_workgroup_id_x 1
		.amdhsa_system_sgpr_workgroup_id_y 1
		.amdhsa_system_sgpr_workgroup_id_z 0
		.amdhsa_system_sgpr_workgroup_info 0
		.amdhsa_system_vgpr_workitem_id 0
		.amdhsa_next_free_vgpr 10
		.amdhsa_next_free_sgpr 16
		.amdhsa_reserve_vcc 1
		.amdhsa_float_round_mode_32 0
		.amdhsa_float_round_mode_16_64 0
		.amdhsa_float_denorm_mode_32 3
		.amdhsa_float_denorm_mode_16_64 3
		.amdhsa_dx10_clamp 1
		.amdhsa_ieee_mode 1
		.amdhsa_fp16_overflow 0
		.amdhsa_workgroup_processor_mode 1
		.amdhsa_memory_ordered 1
		.amdhsa_forward_progress 0
		.amdhsa_shared_vgpr_count 0
		.amdhsa_exception_fp_ieee_invalid_op 0
		.amdhsa_exception_fp_denorm_src 0
		.amdhsa_exception_fp_ieee_div_zero 0
		.amdhsa_exception_fp_ieee_overflow 0
		.amdhsa_exception_fp_ieee_underflow 0
		.amdhsa_exception_fp_ieee_inexact 0
		.amdhsa_exception_int_div_zero 0
	.end_amdhsa_kernel
	.section	.text._ZN4vllm35silu_and_mul_per_block_quant_kernelIfN3c1015Float8_e4m3fnuzELb0ELi64EEEvPT0_PfPKT_PKfi,"axG",@progbits,_ZN4vllm35silu_and_mul_per_block_quant_kernelIfN3c1015Float8_e4m3fnuzELb0ELi64EEEvPT0_PfPKT_PKfi,comdat
.Lfunc_end7:
	.size	_ZN4vllm35silu_and_mul_per_block_quant_kernelIfN3c1015Float8_e4m3fnuzELb0ELi64EEEvPT0_PfPKT_PKfi, .Lfunc_end7-_ZN4vllm35silu_and_mul_per_block_quant_kernelIfN3c1015Float8_e4m3fnuzELb0ELi64EEEvPT0_PfPKT_PKfi
                                        ; -- End function
	.section	.AMDGPU.csdata,"",@progbits
; Kernel info:
; codeLenInByte = 1544
; NumSgprs: 18
; NumVgprs: 10
; ScratchSize: 0
; MemoryBound: 0
; FloatMode: 240
; IeeeMode: 1
; LDSByteSize: 256 bytes/workgroup (compile time only)
; SGPRBlocks: 2
; VGPRBlocks: 1
; NumSGPRsForWavesPerEU: 18
; NumVGPRsForWavesPerEU: 10
; Occupancy: 16
; WaveLimiterHint : 0
; COMPUTE_PGM_RSRC2:SCRATCH_EN: 0
; COMPUTE_PGM_RSRC2:USER_SGPR: 14
; COMPUTE_PGM_RSRC2:TRAP_HANDLER: 0
; COMPUTE_PGM_RSRC2:TGID_X_EN: 1
; COMPUTE_PGM_RSRC2:TGID_Y_EN: 1
; COMPUTE_PGM_RSRC2:TGID_Z_EN: 0
; COMPUTE_PGM_RSRC2:TIDIG_COMP_CNT: 0
	.section	.text._ZN4vllm35silu_and_mul_per_block_quant_kernelIfaLb1ELi128EEEvPT0_PfPKT_PKfi,"axG",@progbits,_ZN4vllm35silu_and_mul_per_block_quant_kernelIfaLb1ELi128EEEvPT0_PfPKT_PKfi,comdat
	.protected	_ZN4vllm35silu_and_mul_per_block_quant_kernelIfaLb1ELi128EEEvPT0_PfPKT_PKfi ; -- Begin function _ZN4vllm35silu_and_mul_per_block_quant_kernelIfaLb1ELi128EEEvPT0_PfPKT_PKfi
	.globl	_ZN4vllm35silu_and_mul_per_block_quant_kernelIfaLb1ELi128EEEvPT0_PfPKT_PKfi
	.p2align	8
	.type	_ZN4vllm35silu_and_mul_per_block_quant_kernelIfaLb1ELi128EEEvPT0_PfPKT_PKfi,@function
_ZN4vllm35silu_and_mul_per_block_quant_kernelIfaLb1ELi128EEEvPT0_PfPKT_PKfi: ; @_ZN4vllm35silu_and_mul_per_block_quant_kernelIfaLb1ELi128EEEvPT0_PfPKT_PKfi
; %bb.0:
	s_clause 0x2
	s_load_b32 s4, s[0:1], 0x20
	s_load_b64 s[8:9], s[0:1], 0x10
	s_load_b32 s3, s[0:1], 0x28
	s_lshl_b32 s6, s15, 7
	v_lshlrev_b32_e32 v2, 2, v0
	s_mov_b32 s2, s15
	s_waitcnt lgkmcnt(0)
	s_mul_i32 s5, s14, s4
	s_delay_alu instid0(SALU_CYCLE_1) | instskip(SKIP_2) | instid1(SALU_CYCLE_1)
	s_lshl_b32 s10, s5, 1
	s_ashr_i32 s5, s4, 31
	s_ashr_i32 s11, s10, 31
	s_lshl_b64 s[10:11], s[10:11], 2
	s_delay_alu instid0(SALU_CYCLE_1) | instskip(SKIP_2) | instid1(SALU_CYCLE_1)
	s_add_u32 s10, s8, s10
	s_addc_u32 s11, s9, s11
	s_ashr_i32 s7, s6, 31
	s_lshl_b64 s[8:9], s[6:7], 2
	s_delay_alu instid0(SALU_CYCLE_1)
	s_add_u32 s8, s10, s8
	s_addc_u32 s9, s11, s9
	s_lshl_b64 s[10:11], s[4:5], 2
	global_load_b32 v1, v2, s[8:9]
	s_add_u32 s8, s8, s10
	s_addc_u32 s9, s9, s11
	s_mov_b32 s5, exec_lo
	s_waitcnt vmcnt(0)
	v_mul_f32_e32 v4, 0xbfb8aa3b, v1
	v_cmp_nlt_f32_e32 vcc_lo, 0x42ce8ed0, v1
	s_delay_alu instid0(VALU_DEP_2) | instskip(SKIP_1) | instid1(VALU_DEP_2)
	v_fma_f32 v5, 0xbfb8aa3b, v1, -v4
	v_rndne_f32_e32 v6, v4
	v_fmamk_f32 v5, v1, 0xb2a5705f, v5
	global_load_b32 v3, v2, s[8:9]
	v_sub_f32_e32 v4, v4, v6
	s_delay_alu instid0(VALU_DEP_1) | instskip(SKIP_1) | instid1(VALU_DEP_2)
	v_add_f32_e32 v4, v4, v5
	v_cvt_i32_f32_e32 v5, v6
	v_exp_f32_e32 v4, v4
	s_waitcnt_depctr 0xfff
	v_ldexp_f32 v4, v4, v5
	s_delay_alu instid0(VALU_DEP_1) | instskip(SKIP_1) | instid1(VALU_DEP_2)
	v_cndmask_b32_e32 v4, 0, v4, vcc_lo
	v_cmp_ngt_f32_e32 vcc_lo, 0xc2b17218, v1
	v_cndmask_b32_e32 v4, 0x7f800000, v4, vcc_lo
	s_delay_alu instid0(VALU_DEP_1) | instskip(NEXT) | instid1(VALU_DEP_1)
	v_add_f32_e32 v4, 1.0, v4
	v_div_scale_f32 v5, null, v4, v4, 1.0
	v_div_scale_f32 v8, vcc_lo, 1.0, v4, 1.0
	s_delay_alu instid0(VALU_DEP_2) | instskip(SKIP_2) | instid1(VALU_DEP_1)
	v_rcp_f32_e32 v6, v5
	s_waitcnt_depctr 0xfff
	v_fma_f32 v7, -v5, v6, 1.0
	v_fmac_f32_e32 v6, v7, v6
	s_delay_alu instid0(VALU_DEP_1) | instskip(NEXT) | instid1(VALU_DEP_1)
	v_mul_f32_e32 v7, v8, v6
	v_fma_f32 v9, -v5, v7, v8
	s_delay_alu instid0(VALU_DEP_1) | instskip(NEXT) | instid1(VALU_DEP_1)
	v_fmac_f32_e32 v7, v9, v6
	v_fma_f32 v5, -v5, v7, v8
	s_delay_alu instid0(VALU_DEP_1) | instskip(NEXT) | instid1(VALU_DEP_1)
	v_div_fmas_f32 v5, v5, v6, v7
	v_div_fixup_f32 v4, v5, v4, 1.0
	s_delay_alu instid0(VALU_DEP_1) | instskip(SKIP_1) | instid1(VALU_DEP_1)
	v_mul_f32_e32 v1, v1, v4
	s_waitcnt vmcnt(0)
	v_mul_f32_e32 v1, v3, v1
	s_delay_alu instid0(VALU_DEP_1)
	v_and_b32_e32 v3, 0x7fffffff, v1
	ds_store_b32 v2, v3
	s_waitcnt lgkmcnt(0)
	s_barrier
	buffer_gl0_inv
	v_cmpx_gt_u32_e32 64, v0
	s_cbranch_execz .LBB8_2
; %bb.1:
	ds_load_2addr_stride64_b32 v[3:4], v2 offset1:1
	s_waitcnt lgkmcnt(0)
	v_dual_max_f32 v4, v4, v4 :: v_dual_max_f32 v3, v3, v3
	s_delay_alu instid0(VALU_DEP_1)
	v_max_f32_e32 v3, v3, v4
	ds_store_b32 v2, v3
.LBB8_2:
	s_or_b32 exec_lo, exec_lo, s5
	s_delay_alu instid0(SALU_CYCLE_1)
	s_mov_b32 s5, exec_lo
	s_waitcnt lgkmcnt(0)
	s_barrier
	buffer_gl0_inv
	v_cmpx_gt_u32_e32 32, v0
	s_cbranch_execz .LBB8_4
; %bb.3:
	ds_load_2addr_b32 v[3:4], v2 offset1:32
	s_waitcnt lgkmcnt(0)
	v_dual_max_f32 v4, v4, v4 :: v_dual_max_f32 v3, v3, v3
	s_delay_alu instid0(VALU_DEP_1)
	v_max_f32_e32 v3, v3, v4
	ds_store_b32 v2, v3
.LBB8_4:
	s_or_b32 exec_lo, exec_lo, s5
	s_delay_alu instid0(SALU_CYCLE_1)
	s_mov_b32 s5, exec_lo
	s_waitcnt lgkmcnt(0)
	s_barrier
	buffer_gl0_inv
	v_cmpx_gt_u32_e32 16, v0
	s_cbranch_execz .LBB8_6
; %bb.5:
	ds_load_2addr_b32 v[3:4], v2 offset1:16
	s_waitcnt lgkmcnt(0)
	v_dual_max_f32 v4, v4, v4 :: v_dual_max_f32 v3, v3, v3
	s_delay_alu instid0(VALU_DEP_1)
	v_max_f32_e32 v3, v3, v4
	ds_store_b32 v2, v3
.LBB8_6:
	;; [unrolled: 16-line block ×5, first 2 shown]
	s_or_b32 exec_lo, exec_lo, s5
	v_cmp_eq_u32_e32 vcc_lo, 0, v0
	s_waitcnt lgkmcnt(0)
	s_barrier
	buffer_gl0_inv
	s_and_saveexec_b32 s5, vcc_lo
	s_cbranch_execz .LBB8_14
; %bb.13:
	v_mov_b32_e32 v3, 0
	ds_load_b32 v3, v3 offset:4
	ds_load_b32 v4, v2
	s_waitcnt lgkmcnt(0)
	v_dual_max_f32 v3, v3, v3 :: v_dual_max_f32 v4, v4, v4
	s_delay_alu instid0(VALU_DEP_1)
	v_max_f32_e32 v3, v4, v3
	ds_store_b32 v2, v3
.LBB8_14:
	s_or_b32 exec_lo, exec_lo, s5
	s_load_b64 s[8:9], s[0:1], 0x0
	s_ashr_i32 s15, s14, 31
	s_waitcnt lgkmcnt(0)
	s_barrier
	buffer_gl0_inv
	s_and_saveexec_b32 s5, vcc_lo
	s_cbranch_execz .LBB8_18
; %bb.15:
	v_mov_b32_e32 v2, 0
	ds_load_b32 v3, v2
	s_clause 0x1
	s_load_b64 s[10:11], s[0:1], 0x18
	s_load_b64 s[0:1], s[0:1], 0x8
	s_waitcnt lgkmcnt(0)
	s_cmp_eq_u64 s[10:11], 0
	v_div_scale_f32 v4, null, 0x42fe0000, 0x42fe0000, v3
	s_delay_alu instid0(VALU_DEP_1) | instskip(SKIP_2) | instid1(VALU_DEP_1)
	v_rcp_f32_e32 v5, v4
	s_waitcnt_depctr 0xfff
	v_fma_f32 v6, -v4, v5, 1.0
	v_fmac_f32_e32 v5, v6, v5
	v_div_scale_f32 v6, vcc_lo, v3, 0x42fe0000, v3
	s_delay_alu instid0(VALU_DEP_1) | instskip(NEXT) | instid1(VALU_DEP_1)
	v_mul_f32_e32 v7, v6, v5
	v_fma_f32 v8, -v4, v7, v6
	s_delay_alu instid0(VALU_DEP_1) | instskip(NEXT) | instid1(VALU_DEP_1)
	v_fmac_f32_e32 v7, v8, v5
	v_fma_f32 v4, -v4, v7, v6
	s_delay_alu instid0(VALU_DEP_1) | instskip(NEXT) | instid1(VALU_DEP_1)
	v_div_fmas_f32 v4, v4, v5, v7
	v_div_fixup_f32 v3, v4, 0x42fe0000, v3
	s_cbranch_scc1 .LBB8_17
; %bb.16:
	s_load_b32 s10, s[10:11], 0x0
	s_delay_alu instid0(VALU_DEP_1) | instskip(SKIP_2) | instid1(VALU_DEP_1)
	v_max_f32_e32 v3, v3, v3
	s_waitcnt lgkmcnt(0)
	v_max_f32_e64 v4, s10, s10
	v_min_f32_e32 v3, v3, v4
.LBB8_17:
	s_mul_i32 s2, s3, s2
	s_delay_alu instid0(VALU_DEP_1) | instskip(SKIP_1) | instid1(SALU_CYCLE_1)
	v_max_f32_e32 v3, v3, v3
	s_ashr_i32 s3, s2, 31
	s_lshl_b64 s[2:3], s[2:3], 2
	s_delay_alu instid0(VALU_DEP_1) | instskip(SKIP_3) | instid1(SALU_CYCLE_1)
	v_max_f32_e32 v3, 0x34000000, v3
	s_add_u32 s2, s0, s2
	s_addc_u32 s3, s1, s3
	s_lshl_b64 s[0:1], s[14:15], 2
	s_add_u32 s0, s2, s0
	s_addc_u32 s1, s3, s1
	ds_store_b32 v2, v3
	global_store_b32 v2, v3, s[0:1]
.LBB8_18:
	s_or_b32 exec_lo, exec_lo, s5
	v_mov_b32_e32 v2, 0
	s_waitcnt lgkmcnt(0)
	s_waitcnt_vscnt null, 0x0
	s_barrier
	buffer_gl0_inv
	s_mul_i32 s0, s14, s4
	ds_load_b32 v2, v2
	s_ashr_i32 s1, s0, 31
	s_add_u32 s0, s8, s0
	s_addc_u32 s1, s9, s1
	s_add_u32 s0, s0, s6
	s_addc_u32 s1, s1, s7
	v_add_co_u32 v0, s0, s0, v0
	s_waitcnt lgkmcnt(0)
	v_div_scale_f32 v3, null, v2, v2, v1
	v_div_scale_f32 v6, vcc_lo, v1, v2, v1
	s_delay_alu instid0(VALU_DEP_2) | instskip(SKIP_2) | instid1(VALU_DEP_1)
	v_rcp_f32_e32 v4, v3
	s_waitcnt_depctr 0xfff
	v_fma_f32 v5, -v3, v4, 1.0
	v_fmac_f32_e32 v4, v5, v4
	s_delay_alu instid0(VALU_DEP_1) | instskip(NEXT) | instid1(VALU_DEP_1)
	v_mul_f32_e32 v5, v6, v4
	v_fma_f32 v7, -v3, v5, v6
	s_delay_alu instid0(VALU_DEP_1) | instskip(NEXT) | instid1(VALU_DEP_1)
	v_fmac_f32_e32 v5, v7, v4
	v_fma_f32 v3, -v3, v5, v6
	s_delay_alu instid0(VALU_DEP_1) | instskip(NEXT) | instid1(VALU_DEP_1)
	v_div_fmas_f32 v3, v3, v4, v5
	v_div_fixup_f32 v1, v3, v2, v1
	s_delay_alu instid0(VALU_DEP_1) | instskip(NEXT) | instid1(VALU_DEP_1)
	v_rndne_f32_e32 v1, v1
	v_cmp_nlt_f32_e32 vcc_lo, 0x42fe0000, v1
	v_cndmask_b32_e32 v2, 0x42fe0000, v1, vcc_lo
	v_cmp_ngt_f32_e32 vcc_lo, 0xc3000000, v1
	s_delay_alu instid0(VALU_DEP_2) | instskip(NEXT) | instid1(VALU_DEP_1)
	v_cndmask_b32_e32 v1, 0xc3000000, v2, vcc_lo
	v_cvt_i32_f32_e32 v2, v1
	v_add_co_ci_u32_e64 v1, null, s1, 0, s0
	global_store_b8 v[0:1], v2, off
	s_nop 0
	s_sendmsg sendmsg(MSG_DEALLOC_VGPRS)
	s_endpgm
	.section	.rodata,"a",@progbits
	.p2align	6, 0x0
	.amdhsa_kernel _ZN4vllm35silu_and_mul_per_block_quant_kernelIfaLb1ELi128EEEvPT0_PfPKT_PKfi
		.amdhsa_group_segment_fixed_size 512
		.amdhsa_private_segment_fixed_size 0
		.amdhsa_kernarg_size 296
		.amdhsa_user_sgpr_count 14
		.amdhsa_user_sgpr_dispatch_ptr 0
		.amdhsa_user_sgpr_queue_ptr 0
		.amdhsa_user_sgpr_kernarg_segment_ptr 1
		.amdhsa_user_sgpr_dispatch_id 0
		.amdhsa_user_sgpr_private_segment_size 0
		.amdhsa_wavefront_size32 1
		.amdhsa_uses_dynamic_stack 0
		.amdhsa_enable_private_segment 0
		.amdhsa_system_sgpr_workgroup_id_x 1
		.amdhsa_system_sgpr_workgroup_id_y 1
		.amdhsa_system_sgpr_workgroup_id_z 0
		.amdhsa_system_sgpr_workgroup_info 0
		.amdhsa_system_vgpr_workitem_id 0
		.amdhsa_next_free_vgpr 10
		.amdhsa_next_free_sgpr 16
		.amdhsa_reserve_vcc 1
		.amdhsa_float_round_mode_32 0
		.amdhsa_float_round_mode_16_64 0
		.amdhsa_float_denorm_mode_32 3
		.amdhsa_float_denorm_mode_16_64 3
		.amdhsa_dx10_clamp 1
		.amdhsa_ieee_mode 1
		.amdhsa_fp16_overflow 0
		.amdhsa_workgroup_processor_mode 1
		.amdhsa_memory_ordered 1
		.amdhsa_forward_progress 0
		.amdhsa_shared_vgpr_count 0
		.amdhsa_exception_fp_ieee_invalid_op 0
		.amdhsa_exception_fp_denorm_src 0
		.amdhsa_exception_fp_ieee_div_zero 0
		.amdhsa_exception_fp_ieee_overflow 0
		.amdhsa_exception_fp_ieee_underflow 0
		.amdhsa_exception_fp_ieee_inexact 0
		.amdhsa_exception_int_div_zero 0
	.end_amdhsa_kernel
	.section	.text._ZN4vllm35silu_and_mul_per_block_quant_kernelIfaLb1ELi128EEEvPT0_PfPKT_PKfi,"axG",@progbits,_ZN4vllm35silu_and_mul_per_block_quant_kernelIfaLb1ELi128EEEvPT0_PfPKT_PKfi,comdat
.Lfunc_end8:
	.size	_ZN4vllm35silu_and_mul_per_block_quant_kernelIfaLb1ELi128EEEvPT0_PfPKT_PKfi, .Lfunc_end8-_ZN4vllm35silu_and_mul_per_block_quant_kernelIfaLb1ELi128EEEvPT0_PfPKT_PKfi
                                        ; -- End function
	.section	.AMDGPU.csdata,"",@progbits
; Kernel info:
; codeLenInByte = 1400
; NumSgprs: 18
; NumVgprs: 10
; ScratchSize: 0
; MemoryBound: 0
; FloatMode: 240
; IeeeMode: 1
; LDSByteSize: 512 bytes/workgroup (compile time only)
; SGPRBlocks: 2
; VGPRBlocks: 1
; NumSGPRsForWavesPerEU: 18
; NumVGPRsForWavesPerEU: 10
; Occupancy: 16
; WaveLimiterHint : 0
; COMPUTE_PGM_RSRC2:SCRATCH_EN: 0
; COMPUTE_PGM_RSRC2:USER_SGPR: 14
; COMPUTE_PGM_RSRC2:TRAP_HANDLER: 0
; COMPUTE_PGM_RSRC2:TGID_X_EN: 1
; COMPUTE_PGM_RSRC2:TGID_Y_EN: 1
; COMPUTE_PGM_RSRC2:TGID_Z_EN: 0
; COMPUTE_PGM_RSRC2:TIDIG_COMP_CNT: 0
	.section	.text._ZN4vllm35silu_and_mul_per_block_quant_kernelIfaLb0ELi128EEEvPT0_PfPKT_PKfi,"axG",@progbits,_ZN4vllm35silu_and_mul_per_block_quant_kernelIfaLb0ELi128EEEvPT0_PfPKT_PKfi,comdat
	.protected	_ZN4vllm35silu_and_mul_per_block_quant_kernelIfaLb0ELi128EEEvPT0_PfPKT_PKfi ; -- Begin function _ZN4vllm35silu_and_mul_per_block_quant_kernelIfaLb0ELi128EEEvPT0_PfPKT_PKfi
	.globl	_ZN4vllm35silu_and_mul_per_block_quant_kernelIfaLb0ELi128EEEvPT0_PfPKT_PKfi
	.p2align	8
	.type	_ZN4vllm35silu_and_mul_per_block_quant_kernelIfaLb0ELi128EEEvPT0_PfPKT_PKfi,@function
_ZN4vllm35silu_and_mul_per_block_quant_kernelIfaLb0ELi128EEEvPT0_PfPKT_PKfi: ; @_ZN4vllm35silu_and_mul_per_block_quant_kernelIfaLb0ELi128EEEvPT0_PfPKT_PKfi
; %bb.0:
	s_clause 0x2
	s_load_b32 s6, s[0:1], 0x20
	s_load_b64 s[8:9], s[0:1], 0x10
	s_load_b32 s5, s[0:1], 0x2c
	s_lshl_b32 s2, s15, 7
	v_lshlrev_b32_e32 v2, 2, v0
	s_mov_b32 s4, s15
	s_waitcnt lgkmcnt(0)
	s_mul_i32 s10, s14, s6
	s_ashr_i32 s7, s6, 31
	s_lshl_b32 s12, s10, 1
	s_delay_alu instid0(SALU_CYCLE_1) | instskip(NEXT) | instid1(SALU_CYCLE_1)
	s_ashr_i32 s13, s12, 31
	s_lshl_b64 s[12:13], s[12:13], 2
	s_delay_alu instid0(SALU_CYCLE_1) | instskip(SKIP_2) | instid1(SALU_CYCLE_1)
	s_add_u32 s11, s8, s12
	s_addc_u32 s12, s9, s13
	s_ashr_i32 s3, s2, 31
	s_lshl_b64 s[8:9], s[2:3], 2
	s_delay_alu instid0(SALU_CYCLE_1)
	s_add_u32 s8, s11, s8
	s_addc_u32 s9, s12, s9
	s_lshl_b64 s[6:7], s[6:7], 2
	global_load_b32 v1, v2, s[8:9]
	s_add_u32 s6, s8, s6
	s_addc_u32 s7, s9, s7
	global_load_b32 v3, v2, s[6:7]
	s_mov_b32 s6, exec_lo
	s_waitcnt vmcnt(1)
	v_mul_f32_e32 v4, 0xbfb8aa3b, v1
	v_cmp_nlt_f32_e32 vcc_lo, 0x42ce8ed0, v1
	s_delay_alu instid0(VALU_DEP_2) | instskip(SKIP_1) | instid1(VALU_DEP_1)
	v_fma_f32 v5, 0xbfb8aa3b, v1, -v4
	v_rndne_f32_e32 v6, v4
	v_dual_fmamk_f32 v5, v1, 0xb2a5705f, v5 :: v_dual_sub_f32 v4, v4, v6
	s_delay_alu instid0(VALU_DEP_1) | instskip(SKIP_1) | instid1(VALU_DEP_2)
	v_add_f32_e32 v4, v4, v5
	v_cvt_i32_f32_e32 v5, v6
	v_exp_f32_e32 v4, v4
	s_waitcnt_depctr 0xfff
	v_ldexp_f32 v4, v4, v5
	s_delay_alu instid0(VALU_DEP_1) | instskip(SKIP_1) | instid1(VALU_DEP_2)
	v_cndmask_b32_e32 v4, 0, v4, vcc_lo
	v_cmp_ngt_f32_e32 vcc_lo, 0xc2b17218, v1
	v_cndmask_b32_e32 v4, 0x7f800000, v4, vcc_lo
	s_delay_alu instid0(VALU_DEP_1) | instskip(NEXT) | instid1(VALU_DEP_1)
	v_add_f32_e32 v4, 1.0, v4
	v_div_scale_f32 v5, null, v4, v4, 1.0
	v_div_scale_f32 v8, vcc_lo, 1.0, v4, 1.0
	s_delay_alu instid0(VALU_DEP_2) | instskip(SKIP_2) | instid1(VALU_DEP_1)
	v_rcp_f32_e32 v6, v5
	s_waitcnt_depctr 0xfff
	v_fma_f32 v7, -v5, v6, 1.0
	v_fmac_f32_e32 v6, v7, v6
	s_delay_alu instid0(VALU_DEP_1) | instskip(NEXT) | instid1(VALU_DEP_1)
	v_mul_f32_e32 v7, v8, v6
	v_fma_f32 v9, -v5, v7, v8
	s_delay_alu instid0(VALU_DEP_1) | instskip(NEXT) | instid1(VALU_DEP_1)
	v_fmac_f32_e32 v7, v9, v6
	v_fma_f32 v5, -v5, v7, v8
	s_delay_alu instid0(VALU_DEP_1) | instskip(NEXT) | instid1(VALU_DEP_1)
	v_div_fmas_f32 v5, v5, v6, v7
	v_div_fixup_f32 v4, v5, v4, 1.0
	s_delay_alu instid0(VALU_DEP_1) | instskip(SKIP_1) | instid1(VALU_DEP_1)
	v_mul_f32_e32 v1, v1, v4
	s_waitcnt vmcnt(0)
	v_mul_f32_e32 v1, v3, v1
	s_delay_alu instid0(VALU_DEP_1)
	v_and_b32_e32 v3, 0x7fffffff, v1
	ds_store_b32 v2, v3
	s_waitcnt lgkmcnt(0)
	s_barrier
	buffer_gl0_inv
	v_cmpx_gt_u32_e32 64, v0
	s_cbranch_execz .LBB9_2
; %bb.1:
	ds_load_2addr_stride64_b32 v[3:4], v2 offset1:1
	s_waitcnt lgkmcnt(0)
	v_dual_max_f32 v4, v4, v4 :: v_dual_max_f32 v3, v3, v3
	s_delay_alu instid0(VALU_DEP_1)
	v_max_f32_e32 v3, v3, v4
	ds_store_b32 v2, v3
.LBB9_2:
	s_or_b32 exec_lo, exec_lo, s6
	s_delay_alu instid0(SALU_CYCLE_1)
	s_mov_b32 s6, exec_lo
	s_waitcnt lgkmcnt(0)
	s_barrier
	buffer_gl0_inv
	v_cmpx_gt_u32_e32 32, v0
	s_cbranch_execz .LBB9_4
; %bb.3:
	ds_load_2addr_b32 v[3:4], v2 offset1:32
	s_waitcnt lgkmcnt(0)
	v_dual_max_f32 v4, v4, v4 :: v_dual_max_f32 v3, v3, v3
	s_delay_alu instid0(VALU_DEP_1)
	v_max_f32_e32 v3, v3, v4
	ds_store_b32 v2, v3
.LBB9_4:
	s_or_b32 exec_lo, exec_lo, s6
	s_delay_alu instid0(SALU_CYCLE_1)
	s_mov_b32 s6, exec_lo
	s_waitcnt lgkmcnt(0)
	s_barrier
	buffer_gl0_inv
	v_cmpx_gt_u32_e32 16, v0
	s_cbranch_execz .LBB9_6
; %bb.5:
	ds_load_2addr_b32 v[3:4], v2 offset1:16
	s_waitcnt lgkmcnt(0)
	v_dual_max_f32 v4, v4, v4 :: v_dual_max_f32 v3, v3, v3
	s_delay_alu instid0(VALU_DEP_1)
	v_max_f32_e32 v3, v3, v4
	ds_store_b32 v2, v3
.LBB9_6:
	;; [unrolled: 16-line block ×5, first 2 shown]
	s_or_b32 exec_lo, exec_lo, s6
	v_cmp_eq_u32_e32 vcc_lo, 0, v0
	s_waitcnt lgkmcnt(0)
	s_barrier
	buffer_gl0_inv
	s_and_saveexec_b32 s6, vcc_lo
	s_cbranch_execz .LBB9_14
; %bb.13:
	v_mov_b32_e32 v3, 0
	ds_load_b32 v3, v3 offset:4
	ds_load_b32 v4, v2
	s_waitcnt lgkmcnt(0)
	v_dual_max_f32 v3, v3, v3 :: v_dual_max_f32 v4, v4, v4
	s_delay_alu instid0(VALU_DEP_1)
	v_max_f32_e32 v3, v4, v3
	ds_store_b32 v2, v3
.LBB9_14:
	s_or_b32 exec_lo, exec_lo, s6
	s_load_b64 s[6:7], s[0:1], 0x0
	s_waitcnt lgkmcnt(0)
	s_barrier
	buffer_gl0_inv
	s_and_saveexec_b32 s11, vcc_lo
	s_cbranch_execz .LBB9_18
; %bb.15:
	v_mov_b32_e32 v2, 0
	ds_load_b32 v3, v2
	s_clause 0x1
	s_load_b64 s[8:9], s[0:1], 0x18
	s_load_b64 s[0:1], s[0:1], 0x8
	s_waitcnt lgkmcnt(0)
	s_cmp_eq_u64 s[8:9], 0
	v_div_scale_f32 v4, null, 0x42fe0000, 0x42fe0000, v3
	s_delay_alu instid0(VALU_DEP_1) | instskip(SKIP_2) | instid1(VALU_DEP_1)
	v_rcp_f32_e32 v5, v4
	s_waitcnt_depctr 0xfff
	v_fma_f32 v6, -v4, v5, 1.0
	v_fmac_f32_e32 v5, v6, v5
	v_div_scale_f32 v6, vcc_lo, v3, 0x42fe0000, v3
	s_delay_alu instid0(VALU_DEP_1) | instskip(NEXT) | instid1(VALU_DEP_1)
	v_mul_f32_e32 v7, v6, v5
	v_fma_f32 v8, -v4, v7, v6
	s_delay_alu instid0(VALU_DEP_1) | instskip(NEXT) | instid1(VALU_DEP_1)
	v_fmac_f32_e32 v7, v8, v5
	v_fma_f32 v4, -v4, v7, v6
	s_delay_alu instid0(VALU_DEP_1) | instskip(NEXT) | instid1(VALU_DEP_1)
	v_div_fmas_f32 v4, v4, v5, v7
	v_div_fixup_f32 v3, v4, 0x42fe0000, v3
	s_cbranch_scc1 .LBB9_17
; %bb.16:
	s_load_b32 s8, s[8:9], 0x0
	s_delay_alu instid0(VALU_DEP_1) | instskip(SKIP_2) | instid1(VALU_DEP_1)
	v_max_f32_e32 v3, v3, v3
	s_waitcnt lgkmcnt(0)
	v_max_f32_e64 v4, s8, s8
	v_min_f32_e32 v3, v3, v4
.LBB9_17:
	s_mul_i32 s8, s5, s14
	s_delay_alu instid0(VALU_DEP_1) | instskip(SKIP_3) | instid1(VALU_DEP_1)
	v_max_f32_e32 v3, v3, v3
	s_ashr_i32 s9, s8, 31
	s_ashr_i32 s5, s4, 31
	s_lshl_b64 s[8:9], s[8:9], 2
	v_max_f32_e32 v3, 0x34000000, v3
	s_add_u32 s8, s0, s8
	s_addc_u32 s9, s1, s9
	s_lshl_b64 s[0:1], s[4:5], 2
	s_delay_alu instid0(SALU_CYCLE_1)
	s_add_u32 s0, s8, s0
	s_addc_u32 s1, s9, s1
	ds_store_b32 v2, v3
	global_store_b32 v2, v3, s[0:1]
.LBB9_18:
	s_or_b32 exec_lo, exec_lo, s11
	v_mov_b32_e32 v2, 0
	s_waitcnt lgkmcnt(0)
	s_waitcnt_vscnt null, 0x0
	s_barrier
	buffer_gl0_inv
	s_ashr_i32 s0, s10, 31
	ds_load_b32 v2, v2
	s_add_u32 s1, s6, s10
	s_addc_u32 s0, s7, s0
	s_add_u32 s1, s1, s2
	s_addc_u32 s0, s0, s3
	v_add_co_u32 v0, s1, s1, v0
	s_waitcnt lgkmcnt(0)
	v_div_scale_f32 v3, null, v2, v2, v1
	v_div_scale_f32 v6, vcc_lo, v1, v2, v1
	s_delay_alu instid0(VALU_DEP_2) | instskip(SKIP_2) | instid1(VALU_DEP_1)
	v_rcp_f32_e32 v4, v3
	s_waitcnt_depctr 0xfff
	v_fma_f32 v5, -v3, v4, 1.0
	v_fmac_f32_e32 v4, v5, v4
	s_delay_alu instid0(VALU_DEP_1) | instskip(NEXT) | instid1(VALU_DEP_1)
	v_mul_f32_e32 v5, v6, v4
	v_fma_f32 v7, -v3, v5, v6
	s_delay_alu instid0(VALU_DEP_1) | instskip(NEXT) | instid1(VALU_DEP_1)
	v_fmac_f32_e32 v5, v7, v4
	v_fma_f32 v3, -v3, v5, v6
	s_delay_alu instid0(VALU_DEP_1) | instskip(NEXT) | instid1(VALU_DEP_1)
	v_div_fmas_f32 v3, v3, v4, v5
	v_div_fixup_f32 v1, v3, v2, v1
	s_delay_alu instid0(VALU_DEP_1) | instskip(NEXT) | instid1(VALU_DEP_1)
	v_rndne_f32_e32 v1, v1
	v_cmp_nlt_f32_e32 vcc_lo, 0x42fe0000, v1
	v_cndmask_b32_e32 v2, 0x42fe0000, v1, vcc_lo
	v_cmp_ngt_f32_e32 vcc_lo, 0xc3000000, v1
	s_delay_alu instid0(VALU_DEP_2) | instskip(NEXT) | instid1(VALU_DEP_1)
	v_cndmask_b32_e32 v1, 0xc3000000, v2, vcc_lo
	v_cvt_i32_f32_e32 v2, v1
	v_add_co_ci_u32_e64 v1, null, s0, 0, s1
	global_store_b8 v[0:1], v2, off
	s_nop 0
	s_sendmsg sendmsg(MSG_DEALLOC_VGPRS)
	s_endpgm
	.section	.rodata,"a",@progbits
	.p2align	6, 0x0
	.amdhsa_kernel _ZN4vllm35silu_and_mul_per_block_quant_kernelIfaLb0ELi128EEEvPT0_PfPKT_PKfi
		.amdhsa_group_segment_fixed_size 512
		.amdhsa_private_segment_fixed_size 0
		.amdhsa_kernarg_size 296
		.amdhsa_user_sgpr_count 14
		.amdhsa_user_sgpr_dispatch_ptr 0
		.amdhsa_user_sgpr_queue_ptr 0
		.amdhsa_user_sgpr_kernarg_segment_ptr 1
		.amdhsa_user_sgpr_dispatch_id 0
		.amdhsa_user_sgpr_private_segment_size 0
		.amdhsa_wavefront_size32 1
		.amdhsa_uses_dynamic_stack 0
		.amdhsa_enable_private_segment 0
		.amdhsa_system_sgpr_workgroup_id_x 1
		.amdhsa_system_sgpr_workgroup_id_y 1
		.amdhsa_system_sgpr_workgroup_id_z 0
		.amdhsa_system_sgpr_workgroup_info 0
		.amdhsa_system_vgpr_workitem_id 0
		.amdhsa_next_free_vgpr 10
		.amdhsa_next_free_sgpr 16
		.amdhsa_reserve_vcc 1
		.amdhsa_float_round_mode_32 0
		.amdhsa_float_round_mode_16_64 0
		.amdhsa_float_denorm_mode_32 3
		.amdhsa_float_denorm_mode_16_64 3
		.amdhsa_dx10_clamp 1
		.amdhsa_ieee_mode 1
		.amdhsa_fp16_overflow 0
		.amdhsa_workgroup_processor_mode 1
		.amdhsa_memory_ordered 1
		.amdhsa_forward_progress 0
		.amdhsa_shared_vgpr_count 0
		.amdhsa_exception_fp_ieee_invalid_op 0
		.amdhsa_exception_fp_denorm_src 0
		.amdhsa_exception_fp_ieee_div_zero 0
		.amdhsa_exception_fp_ieee_overflow 0
		.amdhsa_exception_fp_ieee_underflow 0
		.amdhsa_exception_fp_ieee_inexact 0
		.amdhsa_exception_int_div_zero 0
	.end_amdhsa_kernel
	.section	.text._ZN4vllm35silu_and_mul_per_block_quant_kernelIfaLb0ELi128EEEvPT0_PfPKT_PKfi,"axG",@progbits,_ZN4vllm35silu_and_mul_per_block_quant_kernelIfaLb0ELi128EEEvPT0_PfPKT_PKfi,comdat
.Lfunc_end9:
	.size	_ZN4vllm35silu_and_mul_per_block_quant_kernelIfaLb0ELi128EEEvPT0_PfPKT_PKfi, .Lfunc_end9-_ZN4vllm35silu_and_mul_per_block_quant_kernelIfaLb0ELi128EEEvPT0_PfPKT_PKfi
                                        ; -- End function
	.section	.AMDGPU.csdata,"",@progbits
; Kernel info:
; codeLenInByte = 1396
; NumSgprs: 18
; NumVgprs: 10
; ScratchSize: 0
; MemoryBound: 0
; FloatMode: 240
; IeeeMode: 1
; LDSByteSize: 512 bytes/workgroup (compile time only)
; SGPRBlocks: 2
; VGPRBlocks: 1
; NumSGPRsForWavesPerEU: 18
; NumVGPRsForWavesPerEU: 10
; Occupancy: 16
; WaveLimiterHint : 0
; COMPUTE_PGM_RSRC2:SCRATCH_EN: 0
; COMPUTE_PGM_RSRC2:USER_SGPR: 14
; COMPUTE_PGM_RSRC2:TRAP_HANDLER: 0
; COMPUTE_PGM_RSRC2:TGID_X_EN: 1
; COMPUTE_PGM_RSRC2:TGID_Y_EN: 1
; COMPUTE_PGM_RSRC2:TGID_Z_EN: 0
; COMPUTE_PGM_RSRC2:TIDIG_COMP_CNT: 0
	.section	.text._ZN4vllm35silu_and_mul_per_block_quant_kernelIfaLb1ELi64EEEvPT0_PfPKT_PKfi,"axG",@progbits,_ZN4vllm35silu_and_mul_per_block_quant_kernelIfaLb1ELi64EEEvPT0_PfPKT_PKfi,comdat
	.protected	_ZN4vllm35silu_and_mul_per_block_quant_kernelIfaLb1ELi64EEEvPT0_PfPKT_PKfi ; -- Begin function _ZN4vllm35silu_and_mul_per_block_quant_kernelIfaLb1ELi64EEEvPT0_PfPKT_PKfi
	.globl	_ZN4vllm35silu_and_mul_per_block_quant_kernelIfaLb1ELi64EEEvPT0_PfPKT_PKfi
	.p2align	8
	.type	_ZN4vllm35silu_and_mul_per_block_quant_kernelIfaLb1ELi64EEEvPT0_PfPKT_PKfi,@function
_ZN4vllm35silu_and_mul_per_block_quant_kernelIfaLb1ELi64EEEvPT0_PfPKT_PKfi: ; @_ZN4vllm35silu_and_mul_per_block_quant_kernelIfaLb1ELi64EEEvPT0_PfPKT_PKfi
; %bb.0:
	s_clause 0x2
	s_load_b32 s4, s[0:1], 0x20
	s_load_b64 s[8:9], s[0:1], 0x10
	s_load_b32 s3, s[0:1], 0x28
	s_lshl_b32 s6, s15, 6
	v_lshlrev_b32_e32 v2, 2, v0
	s_mov_b32 s2, s15
	s_waitcnt lgkmcnt(0)
	s_mul_i32 s5, s14, s4
	s_delay_alu instid0(SALU_CYCLE_1) | instskip(SKIP_2) | instid1(SALU_CYCLE_1)
	s_lshl_b32 s10, s5, 1
	s_ashr_i32 s5, s4, 31
	s_ashr_i32 s11, s10, 31
	s_lshl_b64 s[10:11], s[10:11], 2
	s_delay_alu instid0(SALU_CYCLE_1) | instskip(SKIP_2) | instid1(SALU_CYCLE_1)
	s_add_u32 s10, s8, s10
	s_addc_u32 s11, s9, s11
	s_ashr_i32 s7, s6, 31
	s_lshl_b64 s[8:9], s[6:7], 2
	s_delay_alu instid0(SALU_CYCLE_1)
	s_add_u32 s8, s10, s8
	s_addc_u32 s9, s11, s9
	s_lshl_b64 s[10:11], s[4:5], 2
	global_load_b32 v1, v2, s[8:9]
	s_add_u32 s8, s8, s10
	s_addc_u32 s9, s9, s11
	s_mov_b32 s5, exec_lo
	s_waitcnt vmcnt(0)
	v_mul_f32_e32 v4, 0xbfb8aa3b, v1
	v_cmp_nlt_f32_e32 vcc_lo, 0x42ce8ed0, v1
	s_delay_alu instid0(VALU_DEP_2) | instskip(SKIP_1) | instid1(VALU_DEP_2)
	v_fma_f32 v5, 0xbfb8aa3b, v1, -v4
	v_rndne_f32_e32 v6, v4
	v_fmamk_f32 v5, v1, 0xb2a5705f, v5
	global_load_b32 v3, v2, s[8:9]
	v_sub_f32_e32 v4, v4, v6
	s_delay_alu instid0(VALU_DEP_1) | instskip(SKIP_1) | instid1(VALU_DEP_2)
	v_add_f32_e32 v4, v4, v5
	v_cvt_i32_f32_e32 v5, v6
	v_exp_f32_e32 v4, v4
	s_waitcnt_depctr 0xfff
	v_ldexp_f32 v4, v4, v5
	s_delay_alu instid0(VALU_DEP_1) | instskip(SKIP_1) | instid1(VALU_DEP_2)
	v_cndmask_b32_e32 v4, 0, v4, vcc_lo
	v_cmp_ngt_f32_e32 vcc_lo, 0xc2b17218, v1
	v_cndmask_b32_e32 v4, 0x7f800000, v4, vcc_lo
	s_delay_alu instid0(VALU_DEP_1) | instskip(NEXT) | instid1(VALU_DEP_1)
	v_add_f32_e32 v4, 1.0, v4
	v_div_scale_f32 v5, null, v4, v4, 1.0
	v_div_scale_f32 v8, vcc_lo, 1.0, v4, 1.0
	s_delay_alu instid0(VALU_DEP_2) | instskip(SKIP_2) | instid1(VALU_DEP_1)
	v_rcp_f32_e32 v6, v5
	s_waitcnt_depctr 0xfff
	v_fma_f32 v7, -v5, v6, 1.0
	v_fmac_f32_e32 v6, v7, v6
	s_delay_alu instid0(VALU_DEP_1) | instskip(NEXT) | instid1(VALU_DEP_1)
	v_mul_f32_e32 v7, v8, v6
	v_fma_f32 v9, -v5, v7, v8
	s_delay_alu instid0(VALU_DEP_1) | instskip(NEXT) | instid1(VALU_DEP_1)
	v_fmac_f32_e32 v7, v9, v6
	v_fma_f32 v5, -v5, v7, v8
	s_delay_alu instid0(VALU_DEP_1) | instskip(NEXT) | instid1(VALU_DEP_1)
	v_div_fmas_f32 v5, v5, v6, v7
	v_div_fixup_f32 v4, v5, v4, 1.0
	s_delay_alu instid0(VALU_DEP_1) | instskip(SKIP_1) | instid1(VALU_DEP_1)
	v_mul_f32_e32 v1, v1, v4
	s_waitcnt vmcnt(0)
	v_mul_f32_e32 v1, v3, v1
	s_delay_alu instid0(VALU_DEP_1)
	v_and_b32_e32 v3, 0x7fffffff, v1
	ds_store_b32 v2, v3
	s_waitcnt lgkmcnt(0)
	s_barrier
	buffer_gl0_inv
	v_cmpx_gt_u32_e32 32, v0
	s_cbranch_execz .LBB10_2
; %bb.1:
	ds_load_2addr_b32 v[3:4], v2 offset1:32
	s_waitcnt lgkmcnt(0)
	v_dual_max_f32 v4, v4, v4 :: v_dual_max_f32 v3, v3, v3
	s_delay_alu instid0(VALU_DEP_1)
	v_max_f32_e32 v3, v3, v4
	ds_store_b32 v2, v3
.LBB10_2:
	s_or_b32 exec_lo, exec_lo, s5
	s_delay_alu instid0(SALU_CYCLE_1)
	s_mov_b32 s5, exec_lo
	s_waitcnt lgkmcnt(0)
	s_barrier
	buffer_gl0_inv
	v_cmpx_gt_u32_e32 16, v0
	s_cbranch_execz .LBB10_4
; %bb.3:
	ds_load_2addr_b32 v[3:4], v2 offset1:16
	s_waitcnt lgkmcnt(0)
	v_dual_max_f32 v4, v4, v4 :: v_dual_max_f32 v3, v3, v3
	s_delay_alu instid0(VALU_DEP_1)
	v_max_f32_e32 v3, v3, v4
	ds_store_b32 v2, v3
.LBB10_4:
	s_or_b32 exec_lo, exec_lo, s5
	s_delay_alu instid0(SALU_CYCLE_1)
	s_mov_b32 s5, exec_lo
	;; [unrolled: 16-line block ×4, first 2 shown]
	s_waitcnt lgkmcnt(0)
	s_barrier
	buffer_gl0_inv
	v_cmpx_gt_u32_e32 2, v0
	s_cbranch_execz .LBB10_10
; %bb.9:
	ds_load_2addr_b32 v[3:4], v2 offset1:2
	s_waitcnt lgkmcnt(0)
	v_dual_max_f32 v4, v4, v4 :: v_dual_max_f32 v3, v3, v3
	s_delay_alu instid0(VALU_DEP_1)
	v_max_f32_e32 v3, v3, v4
	ds_store_b32 v2, v3
.LBB10_10:
	s_or_b32 exec_lo, exec_lo, s5
	v_cmp_eq_u32_e32 vcc_lo, 0, v0
	s_waitcnt lgkmcnt(0)
	s_barrier
	buffer_gl0_inv
	s_and_saveexec_b32 s5, vcc_lo
	s_cbranch_execz .LBB10_12
; %bb.11:
	v_mov_b32_e32 v3, 0
	ds_load_b32 v3, v3 offset:4
	ds_load_b32 v4, v2
	s_waitcnt lgkmcnt(0)
	v_dual_max_f32 v3, v3, v3 :: v_dual_max_f32 v4, v4, v4
	s_delay_alu instid0(VALU_DEP_1)
	v_max_f32_e32 v3, v4, v3
	ds_store_b32 v2, v3
.LBB10_12:
	s_or_b32 exec_lo, exec_lo, s5
	s_load_b64 s[8:9], s[0:1], 0x0
	s_ashr_i32 s15, s14, 31
	s_waitcnt lgkmcnt(0)
	s_barrier
	buffer_gl0_inv
	s_and_saveexec_b32 s5, vcc_lo
	s_cbranch_execz .LBB10_16
; %bb.13:
	v_mov_b32_e32 v2, 0
	ds_load_b32 v3, v2
	s_clause 0x1
	s_load_b64 s[10:11], s[0:1], 0x18
	s_load_b64 s[0:1], s[0:1], 0x8
	s_waitcnt lgkmcnt(0)
	s_cmp_eq_u64 s[10:11], 0
	v_div_scale_f32 v4, null, 0x42fe0000, 0x42fe0000, v3
	s_delay_alu instid0(VALU_DEP_1) | instskip(SKIP_2) | instid1(VALU_DEP_1)
	v_rcp_f32_e32 v5, v4
	s_waitcnt_depctr 0xfff
	v_fma_f32 v6, -v4, v5, 1.0
	v_fmac_f32_e32 v5, v6, v5
	v_div_scale_f32 v6, vcc_lo, v3, 0x42fe0000, v3
	s_delay_alu instid0(VALU_DEP_1) | instskip(NEXT) | instid1(VALU_DEP_1)
	v_mul_f32_e32 v7, v6, v5
	v_fma_f32 v8, -v4, v7, v6
	s_delay_alu instid0(VALU_DEP_1) | instskip(NEXT) | instid1(VALU_DEP_1)
	v_fmac_f32_e32 v7, v8, v5
	v_fma_f32 v4, -v4, v7, v6
	s_delay_alu instid0(VALU_DEP_1) | instskip(NEXT) | instid1(VALU_DEP_1)
	v_div_fmas_f32 v4, v4, v5, v7
	v_div_fixup_f32 v3, v4, 0x42fe0000, v3
	s_cbranch_scc1 .LBB10_15
; %bb.14:
	s_load_b32 s10, s[10:11], 0x0
	s_delay_alu instid0(VALU_DEP_1) | instskip(SKIP_2) | instid1(VALU_DEP_1)
	v_max_f32_e32 v3, v3, v3
	s_waitcnt lgkmcnt(0)
	v_max_f32_e64 v4, s10, s10
	v_min_f32_e32 v3, v3, v4
.LBB10_15:
	s_mul_i32 s2, s3, s2
	s_delay_alu instid0(VALU_DEP_1) | instskip(SKIP_1) | instid1(SALU_CYCLE_1)
	v_max_f32_e32 v3, v3, v3
	s_ashr_i32 s3, s2, 31
	s_lshl_b64 s[2:3], s[2:3], 2
	s_delay_alu instid0(VALU_DEP_1) | instskip(SKIP_3) | instid1(SALU_CYCLE_1)
	v_max_f32_e32 v3, 0x34000000, v3
	s_add_u32 s2, s0, s2
	s_addc_u32 s3, s1, s3
	s_lshl_b64 s[0:1], s[14:15], 2
	s_add_u32 s0, s2, s0
	s_addc_u32 s1, s3, s1
	ds_store_b32 v2, v3
	global_store_b32 v2, v3, s[0:1]
.LBB10_16:
	s_or_b32 exec_lo, exec_lo, s5
	v_mov_b32_e32 v2, 0
	s_waitcnt lgkmcnt(0)
	s_waitcnt_vscnt null, 0x0
	s_barrier
	buffer_gl0_inv
	s_mul_i32 s0, s14, s4
	ds_load_b32 v2, v2
	s_ashr_i32 s1, s0, 31
	s_add_u32 s0, s8, s0
	s_addc_u32 s1, s9, s1
	s_add_u32 s0, s0, s6
	s_addc_u32 s1, s1, s7
	v_add_co_u32 v0, s0, s0, v0
	s_waitcnt lgkmcnt(0)
	v_div_scale_f32 v3, null, v2, v2, v1
	v_div_scale_f32 v6, vcc_lo, v1, v2, v1
	s_delay_alu instid0(VALU_DEP_2) | instskip(SKIP_2) | instid1(VALU_DEP_1)
	v_rcp_f32_e32 v4, v3
	s_waitcnt_depctr 0xfff
	v_fma_f32 v5, -v3, v4, 1.0
	v_fmac_f32_e32 v4, v5, v4
	s_delay_alu instid0(VALU_DEP_1) | instskip(NEXT) | instid1(VALU_DEP_1)
	v_mul_f32_e32 v5, v6, v4
	v_fma_f32 v7, -v3, v5, v6
	s_delay_alu instid0(VALU_DEP_1) | instskip(NEXT) | instid1(VALU_DEP_1)
	v_fmac_f32_e32 v5, v7, v4
	v_fma_f32 v3, -v3, v5, v6
	s_delay_alu instid0(VALU_DEP_1) | instskip(NEXT) | instid1(VALU_DEP_1)
	v_div_fmas_f32 v3, v3, v4, v5
	v_div_fixup_f32 v1, v3, v2, v1
	s_delay_alu instid0(VALU_DEP_1) | instskip(NEXT) | instid1(VALU_DEP_1)
	v_rndne_f32_e32 v1, v1
	v_cmp_nlt_f32_e32 vcc_lo, 0x42fe0000, v1
	v_cndmask_b32_e32 v2, 0x42fe0000, v1, vcc_lo
	v_cmp_ngt_f32_e32 vcc_lo, 0xc3000000, v1
	s_delay_alu instid0(VALU_DEP_2) | instskip(NEXT) | instid1(VALU_DEP_1)
	v_cndmask_b32_e32 v1, 0xc3000000, v2, vcc_lo
	v_cvt_i32_f32_e32 v2, v1
	v_add_co_ci_u32_e64 v1, null, s1, 0, s0
	global_store_b8 v[0:1], v2, off
	s_nop 0
	s_sendmsg sendmsg(MSG_DEALLOC_VGPRS)
	s_endpgm
	.section	.rodata,"a",@progbits
	.p2align	6, 0x0
	.amdhsa_kernel _ZN4vllm35silu_and_mul_per_block_quant_kernelIfaLb1ELi64EEEvPT0_PfPKT_PKfi
		.amdhsa_group_segment_fixed_size 256
		.amdhsa_private_segment_fixed_size 0
		.amdhsa_kernarg_size 296
		.amdhsa_user_sgpr_count 14
		.amdhsa_user_sgpr_dispatch_ptr 0
		.amdhsa_user_sgpr_queue_ptr 0
		.amdhsa_user_sgpr_kernarg_segment_ptr 1
		.amdhsa_user_sgpr_dispatch_id 0
		.amdhsa_user_sgpr_private_segment_size 0
		.amdhsa_wavefront_size32 1
		.amdhsa_uses_dynamic_stack 0
		.amdhsa_enable_private_segment 0
		.amdhsa_system_sgpr_workgroup_id_x 1
		.amdhsa_system_sgpr_workgroup_id_y 1
		.amdhsa_system_sgpr_workgroup_id_z 0
		.amdhsa_system_sgpr_workgroup_info 0
		.amdhsa_system_vgpr_workitem_id 0
		.amdhsa_next_free_vgpr 10
		.amdhsa_next_free_sgpr 16
		.amdhsa_reserve_vcc 1
		.amdhsa_float_round_mode_32 0
		.amdhsa_float_round_mode_16_64 0
		.amdhsa_float_denorm_mode_32 3
		.amdhsa_float_denorm_mode_16_64 3
		.amdhsa_dx10_clamp 1
		.amdhsa_ieee_mode 1
		.amdhsa_fp16_overflow 0
		.amdhsa_workgroup_processor_mode 1
		.amdhsa_memory_ordered 1
		.amdhsa_forward_progress 0
		.amdhsa_shared_vgpr_count 0
		.amdhsa_exception_fp_ieee_invalid_op 0
		.amdhsa_exception_fp_denorm_src 0
		.amdhsa_exception_fp_ieee_div_zero 0
		.amdhsa_exception_fp_ieee_overflow 0
		.amdhsa_exception_fp_ieee_underflow 0
		.amdhsa_exception_fp_ieee_inexact 0
		.amdhsa_exception_int_div_zero 0
	.end_amdhsa_kernel
	.section	.text._ZN4vllm35silu_and_mul_per_block_quant_kernelIfaLb1ELi64EEEvPT0_PfPKT_PKfi,"axG",@progbits,_ZN4vllm35silu_and_mul_per_block_quant_kernelIfaLb1ELi64EEEvPT0_PfPKT_PKfi,comdat
.Lfunc_end10:
	.size	_ZN4vllm35silu_and_mul_per_block_quant_kernelIfaLb1ELi64EEEvPT0_PfPKT_PKfi, .Lfunc_end10-_ZN4vllm35silu_and_mul_per_block_quant_kernelIfaLb1ELi64EEEvPT0_PfPKT_PKfi
                                        ; -- End function
	.section	.AMDGPU.csdata,"",@progbits
; Kernel info:
; codeLenInByte = 1328
; NumSgprs: 18
; NumVgprs: 10
; ScratchSize: 0
; MemoryBound: 0
; FloatMode: 240
; IeeeMode: 1
; LDSByteSize: 256 bytes/workgroup (compile time only)
; SGPRBlocks: 2
; VGPRBlocks: 1
; NumSGPRsForWavesPerEU: 18
; NumVGPRsForWavesPerEU: 10
; Occupancy: 16
; WaveLimiterHint : 0
; COMPUTE_PGM_RSRC2:SCRATCH_EN: 0
; COMPUTE_PGM_RSRC2:USER_SGPR: 14
; COMPUTE_PGM_RSRC2:TRAP_HANDLER: 0
; COMPUTE_PGM_RSRC2:TGID_X_EN: 1
; COMPUTE_PGM_RSRC2:TGID_Y_EN: 1
; COMPUTE_PGM_RSRC2:TGID_Z_EN: 0
; COMPUTE_PGM_RSRC2:TIDIG_COMP_CNT: 0
	.section	.text._ZN4vllm35silu_and_mul_per_block_quant_kernelIfaLb0ELi64EEEvPT0_PfPKT_PKfi,"axG",@progbits,_ZN4vllm35silu_and_mul_per_block_quant_kernelIfaLb0ELi64EEEvPT0_PfPKT_PKfi,comdat
	.protected	_ZN4vllm35silu_and_mul_per_block_quant_kernelIfaLb0ELi64EEEvPT0_PfPKT_PKfi ; -- Begin function _ZN4vllm35silu_and_mul_per_block_quant_kernelIfaLb0ELi64EEEvPT0_PfPKT_PKfi
	.globl	_ZN4vllm35silu_and_mul_per_block_quant_kernelIfaLb0ELi64EEEvPT0_PfPKT_PKfi
	.p2align	8
	.type	_ZN4vllm35silu_and_mul_per_block_quant_kernelIfaLb0ELi64EEEvPT0_PfPKT_PKfi,@function
_ZN4vllm35silu_and_mul_per_block_quant_kernelIfaLb0ELi64EEEvPT0_PfPKT_PKfi: ; @_ZN4vllm35silu_and_mul_per_block_quant_kernelIfaLb0ELi64EEEvPT0_PfPKT_PKfi
; %bb.0:
	s_clause 0x2
	s_load_b32 s6, s[0:1], 0x20
	s_load_b64 s[8:9], s[0:1], 0x10
	s_load_b32 s5, s[0:1], 0x2c
	s_lshl_b32 s2, s15, 6
	v_lshlrev_b32_e32 v2, 2, v0
	s_mov_b32 s4, s15
	s_waitcnt lgkmcnt(0)
	s_mul_i32 s10, s14, s6
	s_ashr_i32 s7, s6, 31
	s_lshl_b32 s12, s10, 1
	s_delay_alu instid0(SALU_CYCLE_1) | instskip(NEXT) | instid1(SALU_CYCLE_1)
	s_ashr_i32 s13, s12, 31
	s_lshl_b64 s[12:13], s[12:13], 2
	s_delay_alu instid0(SALU_CYCLE_1) | instskip(SKIP_2) | instid1(SALU_CYCLE_1)
	s_add_u32 s11, s8, s12
	s_addc_u32 s12, s9, s13
	s_ashr_i32 s3, s2, 31
	s_lshl_b64 s[8:9], s[2:3], 2
	s_delay_alu instid0(SALU_CYCLE_1)
	s_add_u32 s8, s11, s8
	s_addc_u32 s9, s12, s9
	s_lshl_b64 s[6:7], s[6:7], 2
	global_load_b32 v1, v2, s[8:9]
	s_add_u32 s6, s8, s6
	s_addc_u32 s7, s9, s7
	global_load_b32 v3, v2, s[6:7]
	s_mov_b32 s6, exec_lo
	s_waitcnt vmcnt(1)
	v_mul_f32_e32 v4, 0xbfb8aa3b, v1
	v_cmp_nlt_f32_e32 vcc_lo, 0x42ce8ed0, v1
	s_delay_alu instid0(VALU_DEP_2) | instskip(SKIP_1) | instid1(VALU_DEP_1)
	v_fma_f32 v5, 0xbfb8aa3b, v1, -v4
	v_rndne_f32_e32 v6, v4
	v_dual_fmamk_f32 v5, v1, 0xb2a5705f, v5 :: v_dual_sub_f32 v4, v4, v6
	s_delay_alu instid0(VALU_DEP_1) | instskip(SKIP_1) | instid1(VALU_DEP_2)
	v_add_f32_e32 v4, v4, v5
	v_cvt_i32_f32_e32 v5, v6
	v_exp_f32_e32 v4, v4
	s_waitcnt_depctr 0xfff
	v_ldexp_f32 v4, v4, v5
	s_delay_alu instid0(VALU_DEP_1) | instskip(SKIP_1) | instid1(VALU_DEP_2)
	v_cndmask_b32_e32 v4, 0, v4, vcc_lo
	v_cmp_ngt_f32_e32 vcc_lo, 0xc2b17218, v1
	v_cndmask_b32_e32 v4, 0x7f800000, v4, vcc_lo
	s_delay_alu instid0(VALU_DEP_1) | instskip(NEXT) | instid1(VALU_DEP_1)
	v_add_f32_e32 v4, 1.0, v4
	v_div_scale_f32 v5, null, v4, v4, 1.0
	v_div_scale_f32 v8, vcc_lo, 1.0, v4, 1.0
	s_delay_alu instid0(VALU_DEP_2) | instskip(SKIP_2) | instid1(VALU_DEP_1)
	v_rcp_f32_e32 v6, v5
	s_waitcnt_depctr 0xfff
	v_fma_f32 v7, -v5, v6, 1.0
	v_fmac_f32_e32 v6, v7, v6
	s_delay_alu instid0(VALU_DEP_1) | instskip(NEXT) | instid1(VALU_DEP_1)
	v_mul_f32_e32 v7, v8, v6
	v_fma_f32 v9, -v5, v7, v8
	s_delay_alu instid0(VALU_DEP_1) | instskip(NEXT) | instid1(VALU_DEP_1)
	v_fmac_f32_e32 v7, v9, v6
	v_fma_f32 v5, -v5, v7, v8
	s_delay_alu instid0(VALU_DEP_1) | instskip(NEXT) | instid1(VALU_DEP_1)
	v_div_fmas_f32 v5, v5, v6, v7
	v_div_fixup_f32 v4, v5, v4, 1.0
	s_delay_alu instid0(VALU_DEP_1) | instskip(SKIP_1) | instid1(VALU_DEP_1)
	v_mul_f32_e32 v1, v1, v4
	s_waitcnt vmcnt(0)
	v_mul_f32_e32 v1, v3, v1
	s_delay_alu instid0(VALU_DEP_1)
	v_and_b32_e32 v3, 0x7fffffff, v1
	ds_store_b32 v2, v3
	s_waitcnt lgkmcnt(0)
	s_barrier
	buffer_gl0_inv
	v_cmpx_gt_u32_e32 32, v0
	s_cbranch_execz .LBB11_2
; %bb.1:
	ds_load_2addr_b32 v[3:4], v2 offset1:32
	s_waitcnt lgkmcnt(0)
	v_dual_max_f32 v4, v4, v4 :: v_dual_max_f32 v3, v3, v3
	s_delay_alu instid0(VALU_DEP_1)
	v_max_f32_e32 v3, v3, v4
	ds_store_b32 v2, v3
.LBB11_2:
	s_or_b32 exec_lo, exec_lo, s6
	s_delay_alu instid0(SALU_CYCLE_1)
	s_mov_b32 s6, exec_lo
	s_waitcnt lgkmcnt(0)
	s_barrier
	buffer_gl0_inv
	v_cmpx_gt_u32_e32 16, v0
	s_cbranch_execz .LBB11_4
; %bb.3:
	ds_load_2addr_b32 v[3:4], v2 offset1:16
	s_waitcnt lgkmcnt(0)
	v_dual_max_f32 v4, v4, v4 :: v_dual_max_f32 v3, v3, v3
	s_delay_alu instid0(VALU_DEP_1)
	v_max_f32_e32 v3, v3, v4
	ds_store_b32 v2, v3
.LBB11_4:
	s_or_b32 exec_lo, exec_lo, s6
	s_delay_alu instid0(SALU_CYCLE_1)
	s_mov_b32 s6, exec_lo
	s_waitcnt lgkmcnt(0)
	s_barrier
	buffer_gl0_inv
	v_cmpx_gt_u32_e32 8, v0
	s_cbranch_execz .LBB11_6
; %bb.5:
	ds_load_2addr_b32 v[3:4], v2 offset1:8
	s_waitcnt lgkmcnt(0)
	v_dual_max_f32 v4, v4, v4 :: v_dual_max_f32 v3, v3, v3
	s_delay_alu instid0(VALU_DEP_1)
	v_max_f32_e32 v3, v3, v4
	ds_store_b32 v2, v3
.LBB11_6:
	s_or_b32 exec_lo, exec_lo, s6
	s_delay_alu instid0(SALU_CYCLE_1)
	s_mov_b32 s6, exec_lo
	s_waitcnt lgkmcnt(0)
	s_barrier
	buffer_gl0_inv
	v_cmpx_gt_u32_e32 4, v0
	s_cbranch_execz .LBB11_8
; %bb.7:
	ds_load_2addr_b32 v[3:4], v2 offset1:4
	s_waitcnt lgkmcnt(0)
	v_dual_max_f32 v4, v4, v4 :: v_dual_max_f32 v3, v3, v3
	s_delay_alu instid0(VALU_DEP_1)
	v_max_f32_e32 v3, v3, v4
	ds_store_b32 v2, v3
.LBB11_8:
	s_or_b32 exec_lo, exec_lo, s6
	s_delay_alu instid0(SALU_CYCLE_1)
	s_mov_b32 s6, exec_lo
	s_waitcnt lgkmcnt(0)
	s_barrier
	buffer_gl0_inv
	v_cmpx_gt_u32_e32 2, v0
	s_cbranch_execz .LBB11_10
; %bb.9:
	ds_load_2addr_b32 v[3:4], v2 offset1:2
	s_waitcnt lgkmcnt(0)
	v_dual_max_f32 v4, v4, v4 :: v_dual_max_f32 v3, v3, v3
	s_delay_alu instid0(VALU_DEP_1)
	v_max_f32_e32 v3, v3, v4
	ds_store_b32 v2, v3
.LBB11_10:
	s_or_b32 exec_lo, exec_lo, s6
	v_cmp_eq_u32_e32 vcc_lo, 0, v0
	s_waitcnt lgkmcnt(0)
	s_barrier
	buffer_gl0_inv
	s_and_saveexec_b32 s6, vcc_lo
	s_cbranch_execz .LBB11_12
; %bb.11:
	v_mov_b32_e32 v3, 0
	ds_load_b32 v3, v3 offset:4
	ds_load_b32 v4, v2
	s_waitcnt lgkmcnt(0)
	v_dual_max_f32 v3, v3, v3 :: v_dual_max_f32 v4, v4, v4
	s_delay_alu instid0(VALU_DEP_1)
	v_max_f32_e32 v3, v4, v3
	ds_store_b32 v2, v3
.LBB11_12:
	s_or_b32 exec_lo, exec_lo, s6
	s_load_b64 s[6:7], s[0:1], 0x0
	s_waitcnt lgkmcnt(0)
	s_barrier
	buffer_gl0_inv
	s_and_saveexec_b32 s11, vcc_lo
	s_cbranch_execz .LBB11_16
; %bb.13:
	v_mov_b32_e32 v2, 0
	ds_load_b32 v3, v2
	s_clause 0x1
	s_load_b64 s[8:9], s[0:1], 0x18
	s_load_b64 s[0:1], s[0:1], 0x8
	s_waitcnt lgkmcnt(0)
	s_cmp_eq_u64 s[8:9], 0
	v_div_scale_f32 v4, null, 0x42fe0000, 0x42fe0000, v3
	s_delay_alu instid0(VALU_DEP_1) | instskip(SKIP_2) | instid1(VALU_DEP_1)
	v_rcp_f32_e32 v5, v4
	s_waitcnt_depctr 0xfff
	v_fma_f32 v6, -v4, v5, 1.0
	v_fmac_f32_e32 v5, v6, v5
	v_div_scale_f32 v6, vcc_lo, v3, 0x42fe0000, v3
	s_delay_alu instid0(VALU_DEP_1) | instskip(NEXT) | instid1(VALU_DEP_1)
	v_mul_f32_e32 v7, v6, v5
	v_fma_f32 v8, -v4, v7, v6
	s_delay_alu instid0(VALU_DEP_1) | instskip(NEXT) | instid1(VALU_DEP_1)
	v_fmac_f32_e32 v7, v8, v5
	v_fma_f32 v4, -v4, v7, v6
	s_delay_alu instid0(VALU_DEP_1) | instskip(NEXT) | instid1(VALU_DEP_1)
	v_div_fmas_f32 v4, v4, v5, v7
	v_div_fixup_f32 v3, v4, 0x42fe0000, v3
	s_cbranch_scc1 .LBB11_15
; %bb.14:
	s_load_b32 s8, s[8:9], 0x0
	s_delay_alu instid0(VALU_DEP_1) | instskip(SKIP_2) | instid1(VALU_DEP_1)
	v_max_f32_e32 v3, v3, v3
	s_waitcnt lgkmcnt(0)
	v_max_f32_e64 v4, s8, s8
	v_min_f32_e32 v3, v3, v4
.LBB11_15:
	s_mul_i32 s8, s5, s14
	s_delay_alu instid0(VALU_DEP_1) | instskip(SKIP_3) | instid1(VALU_DEP_1)
	v_max_f32_e32 v3, v3, v3
	s_ashr_i32 s9, s8, 31
	s_ashr_i32 s5, s4, 31
	s_lshl_b64 s[8:9], s[8:9], 2
	v_max_f32_e32 v3, 0x34000000, v3
	s_add_u32 s8, s0, s8
	s_addc_u32 s9, s1, s9
	s_lshl_b64 s[0:1], s[4:5], 2
	s_delay_alu instid0(SALU_CYCLE_1)
	s_add_u32 s0, s8, s0
	s_addc_u32 s1, s9, s1
	ds_store_b32 v2, v3
	global_store_b32 v2, v3, s[0:1]
.LBB11_16:
	s_or_b32 exec_lo, exec_lo, s11
	v_mov_b32_e32 v2, 0
	s_waitcnt lgkmcnt(0)
	s_waitcnt_vscnt null, 0x0
	s_barrier
	buffer_gl0_inv
	s_ashr_i32 s0, s10, 31
	ds_load_b32 v2, v2
	s_add_u32 s1, s6, s10
	s_addc_u32 s0, s7, s0
	s_add_u32 s1, s1, s2
	s_addc_u32 s0, s0, s3
	v_add_co_u32 v0, s1, s1, v0
	s_waitcnt lgkmcnt(0)
	v_div_scale_f32 v3, null, v2, v2, v1
	v_div_scale_f32 v6, vcc_lo, v1, v2, v1
	s_delay_alu instid0(VALU_DEP_2) | instskip(SKIP_2) | instid1(VALU_DEP_1)
	v_rcp_f32_e32 v4, v3
	s_waitcnt_depctr 0xfff
	v_fma_f32 v5, -v3, v4, 1.0
	v_fmac_f32_e32 v4, v5, v4
	s_delay_alu instid0(VALU_DEP_1) | instskip(NEXT) | instid1(VALU_DEP_1)
	v_mul_f32_e32 v5, v6, v4
	v_fma_f32 v7, -v3, v5, v6
	s_delay_alu instid0(VALU_DEP_1) | instskip(NEXT) | instid1(VALU_DEP_1)
	v_fmac_f32_e32 v5, v7, v4
	v_fma_f32 v3, -v3, v5, v6
	s_delay_alu instid0(VALU_DEP_1) | instskip(NEXT) | instid1(VALU_DEP_1)
	v_div_fmas_f32 v3, v3, v4, v5
	v_div_fixup_f32 v1, v3, v2, v1
	s_delay_alu instid0(VALU_DEP_1) | instskip(NEXT) | instid1(VALU_DEP_1)
	v_rndne_f32_e32 v1, v1
	v_cmp_nlt_f32_e32 vcc_lo, 0x42fe0000, v1
	v_cndmask_b32_e32 v2, 0x42fe0000, v1, vcc_lo
	v_cmp_ngt_f32_e32 vcc_lo, 0xc3000000, v1
	s_delay_alu instid0(VALU_DEP_2) | instskip(NEXT) | instid1(VALU_DEP_1)
	v_cndmask_b32_e32 v1, 0xc3000000, v2, vcc_lo
	v_cvt_i32_f32_e32 v2, v1
	v_add_co_ci_u32_e64 v1, null, s0, 0, s1
	global_store_b8 v[0:1], v2, off
	s_nop 0
	s_sendmsg sendmsg(MSG_DEALLOC_VGPRS)
	s_endpgm
	.section	.rodata,"a",@progbits
	.p2align	6, 0x0
	.amdhsa_kernel _ZN4vllm35silu_and_mul_per_block_quant_kernelIfaLb0ELi64EEEvPT0_PfPKT_PKfi
		.amdhsa_group_segment_fixed_size 256
		.amdhsa_private_segment_fixed_size 0
		.amdhsa_kernarg_size 296
		.amdhsa_user_sgpr_count 14
		.amdhsa_user_sgpr_dispatch_ptr 0
		.amdhsa_user_sgpr_queue_ptr 0
		.amdhsa_user_sgpr_kernarg_segment_ptr 1
		.amdhsa_user_sgpr_dispatch_id 0
		.amdhsa_user_sgpr_private_segment_size 0
		.amdhsa_wavefront_size32 1
		.amdhsa_uses_dynamic_stack 0
		.amdhsa_enable_private_segment 0
		.amdhsa_system_sgpr_workgroup_id_x 1
		.amdhsa_system_sgpr_workgroup_id_y 1
		.amdhsa_system_sgpr_workgroup_id_z 0
		.amdhsa_system_sgpr_workgroup_info 0
		.amdhsa_system_vgpr_workitem_id 0
		.amdhsa_next_free_vgpr 10
		.amdhsa_next_free_sgpr 16
		.amdhsa_reserve_vcc 1
		.amdhsa_float_round_mode_32 0
		.amdhsa_float_round_mode_16_64 0
		.amdhsa_float_denorm_mode_32 3
		.amdhsa_float_denorm_mode_16_64 3
		.amdhsa_dx10_clamp 1
		.amdhsa_ieee_mode 1
		.amdhsa_fp16_overflow 0
		.amdhsa_workgroup_processor_mode 1
		.amdhsa_memory_ordered 1
		.amdhsa_forward_progress 0
		.amdhsa_shared_vgpr_count 0
		.amdhsa_exception_fp_ieee_invalid_op 0
		.amdhsa_exception_fp_denorm_src 0
		.amdhsa_exception_fp_ieee_div_zero 0
		.amdhsa_exception_fp_ieee_overflow 0
		.amdhsa_exception_fp_ieee_underflow 0
		.amdhsa_exception_fp_ieee_inexact 0
		.amdhsa_exception_int_div_zero 0
	.end_amdhsa_kernel
	.section	.text._ZN4vllm35silu_and_mul_per_block_quant_kernelIfaLb0ELi64EEEvPT0_PfPKT_PKfi,"axG",@progbits,_ZN4vllm35silu_and_mul_per_block_quant_kernelIfaLb0ELi64EEEvPT0_PfPKT_PKfi,comdat
.Lfunc_end11:
	.size	_ZN4vllm35silu_and_mul_per_block_quant_kernelIfaLb0ELi64EEEvPT0_PfPKT_PKfi, .Lfunc_end11-_ZN4vllm35silu_and_mul_per_block_quant_kernelIfaLb0ELi64EEEvPT0_PfPKT_PKfi
                                        ; -- End function
	.section	.AMDGPU.csdata,"",@progbits
; Kernel info:
; codeLenInByte = 1324
; NumSgprs: 18
; NumVgprs: 10
; ScratchSize: 0
; MemoryBound: 0
; FloatMode: 240
; IeeeMode: 1
; LDSByteSize: 256 bytes/workgroup (compile time only)
; SGPRBlocks: 2
; VGPRBlocks: 1
; NumSGPRsForWavesPerEU: 18
; NumVGPRsForWavesPerEU: 10
; Occupancy: 16
; WaveLimiterHint : 0
; COMPUTE_PGM_RSRC2:SCRATCH_EN: 0
; COMPUTE_PGM_RSRC2:USER_SGPR: 14
; COMPUTE_PGM_RSRC2:TRAP_HANDLER: 0
; COMPUTE_PGM_RSRC2:TGID_X_EN: 1
; COMPUTE_PGM_RSRC2:TGID_Y_EN: 1
; COMPUTE_PGM_RSRC2:TGID_Z_EN: 0
; COMPUTE_PGM_RSRC2:TIDIG_COMP_CNT: 0
	.section	.text._ZN4vllm35silu_and_mul_per_block_quant_kernelIN3c104HalfENS1_13Float8_e4m3fnELb1ELi128EEEvPT0_PfPKT_PKfi,"axG",@progbits,_ZN4vllm35silu_and_mul_per_block_quant_kernelIN3c104HalfENS1_13Float8_e4m3fnELb1ELi128EEEvPT0_PfPKT_PKfi,comdat
	.protected	_ZN4vllm35silu_and_mul_per_block_quant_kernelIN3c104HalfENS1_13Float8_e4m3fnELb1ELi128EEEvPT0_PfPKT_PKfi ; -- Begin function _ZN4vllm35silu_and_mul_per_block_quant_kernelIN3c104HalfENS1_13Float8_e4m3fnELb1ELi128EEEvPT0_PfPKT_PKfi
	.globl	_ZN4vllm35silu_and_mul_per_block_quant_kernelIN3c104HalfENS1_13Float8_e4m3fnELb1ELi128EEEvPT0_PfPKT_PKfi
	.p2align	8
	.type	_ZN4vllm35silu_and_mul_per_block_quant_kernelIN3c104HalfENS1_13Float8_e4m3fnELb1ELi128EEEvPT0_PfPKT_PKfi,@function
_ZN4vllm35silu_and_mul_per_block_quant_kernelIN3c104HalfENS1_13Float8_e4m3fnELb1ELi128EEEvPT0_PfPKT_PKfi: ; @_ZN4vllm35silu_and_mul_per_block_quant_kernelIN3c104HalfENS1_13Float8_e4m3fnELb1ELi128EEEvPT0_PfPKT_PKfi
; %bb.0:
	s_clause 0x2
	s_load_b32 s6, s[0:1], 0x20
	s_load_b64 s[8:9], s[0:1], 0x10
	s_load_b32 s3, s[0:1], 0x28
	v_lshlrev_b32_e32 v1, 1, v0
	s_mov_b32 s2, s15
	s_waitcnt lgkmcnt(0)
	s_mul_i32 s4, s14, s6
	s_ashr_i32 s7, s6, 31
	s_lshl_b32 s10, s4, 1
	s_lshl_b32 s4, s15, 7
	s_ashr_i32 s11, s10, 31
	s_delay_alu instid0(SALU_CYCLE_1) | instskip(NEXT) | instid1(SALU_CYCLE_1)
	s_lshl_b64 s[10:11], s[10:11], 1
	s_add_u32 s10, s8, s10
	s_addc_u32 s11, s9, s11
	s_ashr_i32 s5, s4, 31
	s_delay_alu instid0(SALU_CYCLE_1) | instskip(NEXT) | instid1(SALU_CYCLE_1)
	s_lshl_b64 s[8:9], s[4:5], 1
	s_add_u32 s8, s10, s8
	s_addc_u32 s9, s11, s9
	s_lshl_b64 s[10:11], s[6:7], 1
	global_load_u16 v2, v1, s[8:9]
	s_add_u32 s8, s8, s10
	s_addc_u32 s9, s9, s11
	s_mov_b32 s7, 0xbfb8aa3b
	s_waitcnt vmcnt(0)
	v_cvt_f32_f16_e32 v3, v2
	s_delay_alu instid0(VALU_DEP_1)
	v_mul_f32_e32 v4, 0xbfb8aa3b, v3
	global_load_u16 v1, v1, s[8:9]
	v_cmp_nlt_f32_e32 vcc_lo, 0x42ce8ed0, v3
	v_fma_mix_f32 v5, v2, s7, -v4 op_sel_hi:[1,0,0]
	v_rndne_f32_e32 v6, v4
	s_mov_b32 s7, 0xb2a5705f
	s_delay_alu instid0(VALU_DEP_2) | instid1(SALU_CYCLE_1)
	v_fma_mix_f32 v2, v2, s7, v5 op_sel_hi:[1,0,0]
	s_delay_alu instid0(VALU_DEP_2) | instskip(SKIP_1) | instid1(VALU_DEP_1)
	v_sub_f32_e32 v4, v4, v6
	s_mov_b32 s7, exec_lo
	v_add_f32_e32 v2, v4, v2
	v_cvt_i32_f32_e32 v4, v6
	s_delay_alu instid0(VALU_DEP_2) | instskip(SKIP_2) | instid1(VALU_DEP_1)
	v_exp_f32_e32 v2, v2
	s_waitcnt_depctr 0xfff
	v_ldexp_f32 v2, v2, v4
	v_cndmask_b32_e32 v2, 0, v2, vcc_lo
	v_cmp_ngt_f32_e32 vcc_lo, 0xc2b17218, v3
	s_delay_alu instid0(VALU_DEP_2) | instskip(NEXT) | instid1(VALU_DEP_1)
	v_cndmask_b32_e32 v2, 0x7f800000, v2, vcc_lo
	v_add_f32_e32 v2, 1.0, v2
	s_delay_alu instid0(VALU_DEP_1) | instskip(SKIP_1) | instid1(VALU_DEP_2)
	v_div_scale_f32 v4, null, v2, v2, 1.0
	v_div_scale_f32 v7, vcc_lo, 1.0, v2, 1.0
	v_rcp_f32_e32 v5, v4
	s_waitcnt_depctr 0xfff
	v_fma_f32 v6, -v4, v5, 1.0
	s_delay_alu instid0(VALU_DEP_1) | instskip(NEXT) | instid1(VALU_DEP_1)
	v_fmac_f32_e32 v5, v6, v5
	v_mul_f32_e32 v6, v7, v5
	s_delay_alu instid0(VALU_DEP_1) | instskip(NEXT) | instid1(VALU_DEP_1)
	v_fma_f32 v8, -v4, v6, v7
	v_fmac_f32_e32 v6, v8, v5
	s_delay_alu instid0(VALU_DEP_1) | instskip(NEXT) | instid1(VALU_DEP_1)
	v_fma_f32 v4, -v4, v6, v7
	v_div_fmas_f32 v4, v4, v5, v6
	s_delay_alu instid0(VALU_DEP_1) | instskip(NEXT) | instid1(VALU_DEP_1)
	v_div_fixup_f32 v2, v4, v2, 1.0
	v_mul_f32_e32 v2, v2, v3
	s_waitcnt vmcnt(0)
	v_cvt_f32_f16_e32 v1, v1
	s_delay_alu instid0(VALU_DEP_1) | instskip(NEXT) | instid1(VALU_DEP_1)
	v_dual_mul_f32 v1, v2, v1 :: v_dual_lshlrev_b32 v2, 2, v0
	v_and_b32_e32 v3, 0x7fffffff, v1
	ds_store_b32 v2, v3
	s_waitcnt lgkmcnt(0)
	s_barrier
	buffer_gl0_inv
	v_cmpx_gt_u32_e32 64, v0
	s_cbranch_execz .LBB12_2
; %bb.1:
	ds_load_2addr_stride64_b32 v[3:4], v2 offset1:1
	s_waitcnt lgkmcnt(0)
	v_dual_max_f32 v4, v4, v4 :: v_dual_max_f32 v3, v3, v3
	s_delay_alu instid0(VALU_DEP_1)
	v_max_f32_e32 v3, v3, v4
	ds_store_b32 v2, v3
.LBB12_2:
	s_or_b32 exec_lo, exec_lo, s7
	s_delay_alu instid0(SALU_CYCLE_1)
	s_mov_b32 s7, exec_lo
	s_waitcnt lgkmcnt(0)
	s_barrier
	buffer_gl0_inv
	v_cmpx_gt_u32_e32 32, v0
	s_cbranch_execz .LBB12_4
; %bb.3:
	ds_load_2addr_b32 v[3:4], v2 offset1:32
	s_waitcnt lgkmcnt(0)
	v_dual_max_f32 v4, v4, v4 :: v_dual_max_f32 v3, v3, v3
	s_delay_alu instid0(VALU_DEP_1)
	v_max_f32_e32 v3, v3, v4
	ds_store_b32 v2, v3
.LBB12_4:
	s_or_b32 exec_lo, exec_lo, s7
	s_delay_alu instid0(SALU_CYCLE_1)
	s_mov_b32 s7, exec_lo
	s_waitcnt lgkmcnt(0)
	s_barrier
	buffer_gl0_inv
	v_cmpx_gt_u32_e32 16, v0
	s_cbranch_execz .LBB12_6
; %bb.5:
	ds_load_2addr_b32 v[3:4], v2 offset1:16
	s_waitcnt lgkmcnt(0)
	v_dual_max_f32 v4, v4, v4 :: v_dual_max_f32 v3, v3, v3
	s_delay_alu instid0(VALU_DEP_1)
	v_max_f32_e32 v3, v3, v4
	ds_store_b32 v2, v3
.LBB12_6:
	;; [unrolled: 16-line block ×5, first 2 shown]
	s_or_b32 exec_lo, exec_lo, s7
	v_cmp_eq_u32_e32 vcc_lo, 0, v0
	s_waitcnt lgkmcnt(0)
	s_barrier
	buffer_gl0_inv
	s_and_saveexec_b32 s7, vcc_lo
	s_cbranch_execz .LBB12_14
; %bb.13:
	v_mov_b32_e32 v3, 0
	ds_load_b32 v3, v3 offset:4
	ds_load_b32 v4, v2
	s_waitcnt lgkmcnt(0)
	v_dual_max_f32 v3, v3, v3 :: v_dual_max_f32 v4, v4, v4
	s_delay_alu instid0(VALU_DEP_1)
	v_max_f32_e32 v3, v4, v3
	ds_store_b32 v2, v3
.LBB12_14:
	s_or_b32 exec_lo, exec_lo, s7
	s_load_b64 s[8:9], s[0:1], 0x0
	s_ashr_i32 s15, s14, 31
	s_waitcnt lgkmcnt(0)
	s_barrier
	buffer_gl0_inv
	s_and_saveexec_b32 s7, vcc_lo
	s_cbranch_execz .LBB12_18
; %bb.15:
	v_mov_b32_e32 v2, 0
	ds_load_b32 v3, v2
	s_clause 0x1
	s_load_b64 s[10:11], s[0:1], 0x18
	s_load_b64 s[0:1], s[0:1], 0x8
	s_waitcnt lgkmcnt(0)
	s_cmp_eq_u64 s[10:11], 0
	v_div_scale_f32 v4, null, 0x43e00000, 0x43e00000, v3
	s_delay_alu instid0(VALU_DEP_1) | instskip(SKIP_2) | instid1(VALU_DEP_1)
	v_rcp_f32_e32 v5, v4
	s_waitcnt_depctr 0xfff
	v_fma_f32 v6, -v4, v5, 1.0
	v_fmac_f32_e32 v5, v6, v5
	v_div_scale_f32 v6, vcc_lo, v3, 0x43e00000, v3
	s_delay_alu instid0(VALU_DEP_1) | instskip(NEXT) | instid1(VALU_DEP_1)
	v_mul_f32_e32 v7, v6, v5
	v_fma_f32 v8, -v4, v7, v6
	s_delay_alu instid0(VALU_DEP_1) | instskip(NEXT) | instid1(VALU_DEP_1)
	v_fmac_f32_e32 v7, v8, v5
	v_fma_f32 v4, -v4, v7, v6
	s_delay_alu instid0(VALU_DEP_1) | instskip(NEXT) | instid1(VALU_DEP_1)
	v_div_fmas_f32 v4, v4, v5, v7
	v_div_fixup_f32 v3, v4, 0x43e00000, v3
	s_cbranch_scc1 .LBB12_17
; %bb.16:
	s_load_b32 s10, s[10:11], 0x0
	s_delay_alu instid0(VALU_DEP_1) | instskip(SKIP_2) | instid1(VALU_DEP_1)
	v_max_f32_e32 v3, v3, v3
	s_waitcnt lgkmcnt(0)
	v_max_f32_e64 v4, s10, s10
	v_min_f32_e32 v3, v3, v4
.LBB12_17:
	s_mul_i32 s2, s3, s2
	s_delay_alu instid0(VALU_DEP_1) | instskip(SKIP_1) | instid1(SALU_CYCLE_1)
	v_max_f32_e32 v3, v3, v3
	s_ashr_i32 s3, s2, 31
	s_lshl_b64 s[2:3], s[2:3], 2
	s_delay_alu instid0(VALU_DEP_1) | instskip(SKIP_3) | instid1(SALU_CYCLE_1)
	v_max_f32_e32 v3, 0x36924925, v3
	s_add_u32 s2, s0, s2
	s_addc_u32 s3, s1, s3
	s_lshl_b64 s[0:1], s[14:15], 2
	s_add_u32 s0, s2, s0
	s_addc_u32 s1, s3, s1
	ds_store_b32 v2, v3
	global_store_b32 v2, v3, s[0:1]
.LBB12_18:
	s_or_b32 exec_lo, exec_lo, s7
	v_mov_b32_e32 v2, 0
	s_waitcnt lgkmcnt(0)
	s_waitcnt_vscnt null, 0x0
	s_barrier
	buffer_gl0_inv
	s_mov_b32 s0, 0x43e00000
	ds_load_b32 v2, v2
	s_waitcnt lgkmcnt(0)
	v_div_scale_f32 v3, null, v2, v2, v1
	v_div_scale_f32 v6, vcc_lo, v1, v2, v1
	s_delay_alu instid0(VALU_DEP_2) | instskip(SKIP_2) | instid1(VALU_DEP_1)
	v_rcp_f32_e32 v4, v3
	s_waitcnt_depctr 0xfff
	v_fma_f32 v5, -v3, v4, 1.0
	v_fmac_f32_e32 v4, v5, v4
	s_delay_alu instid0(VALU_DEP_1) | instskip(NEXT) | instid1(VALU_DEP_1)
	v_mul_f32_e32 v5, v6, v4
	v_fma_f32 v7, -v3, v5, v6
	s_delay_alu instid0(VALU_DEP_1) | instskip(NEXT) | instid1(VALU_DEP_1)
	v_fmac_f32_e32 v5, v7, v4
	v_fma_f32 v3, -v3, v5, v6
	s_delay_alu instid0(VALU_DEP_1) | instskip(NEXT) | instid1(VALU_DEP_1)
	v_div_fmas_f32 v3, v3, v4, v5
	v_div_fixup_f32 v1, v3, v2, v1
	v_mov_b32_e32 v2, 0x7f
	s_delay_alu instid0(VALU_DEP_2) | instskip(SKIP_1) | instid1(VALU_DEP_1)
	v_minmax_f32 v1, v1, s0, 0xc3e00000
	s_mov_b32 s0, exec_lo
	v_and_b32_e32 v3, 0x7fffffff, v1
	s_delay_alu instid0(VALU_DEP_1)
	v_cmpx_gt_u32_e32 0x43f00000, v3
	s_cbranch_execz .LBB12_24
; %bb.19:
	s_mov_b32 s1, exec_lo
                                        ; implicit-def: $vgpr2
	v_cmpx_lt_u32_e32 0x3c7fffff, v3
	s_xor_b32 s1, exec_lo, s1
; %bb.20:
	v_bfe_u32 v2, v1, 20, 1
	s_delay_alu instid0(VALU_DEP_1) | instskip(NEXT) | instid1(VALU_DEP_1)
	v_add3_u32 v2, v1, v2, 0x407ffff
	v_lshrrev_b32_e32 v2, 20, v2
; %bb.21:
	s_and_not1_saveexec_b32 s1, s1
; %bb.22:
	v_add_f32_e64 v2, 0x46800000, |v1|
; %bb.23:
	s_or_b32 exec_lo, exec_lo, s1
.LBB12_24:
	s_delay_alu instid0(SALU_CYCLE_1)
	s_or_b32 exec_lo, exec_lo, s0
	s_mul_i32 s0, s14, s6
	v_lshrrev_b32_e32 v1, 24, v1
	s_ashr_i32 s1, s0, 31
	s_add_u32 s0, s8, s0
	s_addc_u32 s1, s9, s1
	s_add_u32 s0, s0, s4
	s_addc_u32 s1, s1, s5
	v_add_co_u32 v0, s0, s0, v0
	v_and_or_b32 v2, 0x80, v1, v2
	v_add_co_ci_u32_e64 v1, null, s1, 0, s0
	global_store_b8 v[0:1], v2, off
	s_nop 0
	s_sendmsg sendmsg(MSG_DEALLOC_VGPRS)
	s_endpgm
	.section	.rodata,"a",@progbits
	.p2align	6, 0x0
	.amdhsa_kernel _ZN4vllm35silu_and_mul_per_block_quant_kernelIN3c104HalfENS1_13Float8_e4m3fnELb1ELi128EEEvPT0_PfPKT_PKfi
		.amdhsa_group_segment_fixed_size 512
		.amdhsa_private_segment_fixed_size 0
		.amdhsa_kernarg_size 296
		.amdhsa_user_sgpr_count 14
		.amdhsa_user_sgpr_dispatch_ptr 0
		.amdhsa_user_sgpr_queue_ptr 0
		.amdhsa_user_sgpr_kernarg_segment_ptr 1
		.amdhsa_user_sgpr_dispatch_id 0
		.amdhsa_user_sgpr_private_segment_size 0
		.amdhsa_wavefront_size32 1
		.amdhsa_uses_dynamic_stack 0
		.amdhsa_enable_private_segment 0
		.amdhsa_system_sgpr_workgroup_id_x 1
		.amdhsa_system_sgpr_workgroup_id_y 1
		.amdhsa_system_sgpr_workgroup_id_z 0
		.amdhsa_system_sgpr_workgroup_info 0
		.amdhsa_system_vgpr_workitem_id 0
		.amdhsa_next_free_vgpr 9
		.amdhsa_next_free_sgpr 16
		.amdhsa_reserve_vcc 1
		.amdhsa_float_round_mode_32 0
		.amdhsa_float_round_mode_16_64 0
		.amdhsa_float_denorm_mode_32 3
		.amdhsa_float_denorm_mode_16_64 3
		.amdhsa_dx10_clamp 1
		.amdhsa_ieee_mode 1
		.amdhsa_fp16_overflow 0
		.amdhsa_workgroup_processor_mode 1
		.amdhsa_memory_ordered 1
		.amdhsa_forward_progress 0
		.amdhsa_shared_vgpr_count 0
		.amdhsa_exception_fp_ieee_invalid_op 0
		.amdhsa_exception_fp_denorm_src 0
		.amdhsa_exception_fp_ieee_div_zero 0
		.amdhsa_exception_fp_ieee_overflow 0
		.amdhsa_exception_fp_ieee_underflow 0
		.amdhsa_exception_fp_ieee_inexact 0
		.amdhsa_exception_int_div_zero 0
	.end_amdhsa_kernel
	.section	.text._ZN4vllm35silu_and_mul_per_block_quant_kernelIN3c104HalfENS1_13Float8_e4m3fnELb1ELi128EEEvPT0_PfPKT_PKfi,"axG",@progbits,_ZN4vllm35silu_and_mul_per_block_quant_kernelIN3c104HalfENS1_13Float8_e4m3fnELb1ELi128EEEvPT0_PfPKT_PKfi,comdat
.Lfunc_end12:
	.size	_ZN4vllm35silu_and_mul_per_block_quant_kernelIN3c104HalfENS1_13Float8_e4m3fnELb1ELi128EEEvPT0_PfPKT_PKfi, .Lfunc_end12-_ZN4vllm35silu_and_mul_per_block_quant_kernelIN3c104HalfENS1_13Float8_e4m3fnELb1ELi128EEEvPT0_PfPKT_PKfi
                                        ; -- End function
	.section	.AMDGPU.csdata,"",@progbits
; Kernel info:
; codeLenInByte = 1524
; NumSgprs: 18
; NumVgprs: 9
; ScratchSize: 0
; MemoryBound: 0
; FloatMode: 240
; IeeeMode: 1
; LDSByteSize: 512 bytes/workgroup (compile time only)
; SGPRBlocks: 2
; VGPRBlocks: 1
; NumSGPRsForWavesPerEU: 18
; NumVGPRsForWavesPerEU: 9
; Occupancy: 16
; WaveLimiterHint : 0
; COMPUTE_PGM_RSRC2:SCRATCH_EN: 0
; COMPUTE_PGM_RSRC2:USER_SGPR: 14
; COMPUTE_PGM_RSRC2:TRAP_HANDLER: 0
; COMPUTE_PGM_RSRC2:TGID_X_EN: 1
; COMPUTE_PGM_RSRC2:TGID_Y_EN: 1
; COMPUTE_PGM_RSRC2:TGID_Z_EN: 0
; COMPUTE_PGM_RSRC2:TIDIG_COMP_CNT: 0
	.section	.text._ZN4vllm35silu_and_mul_per_block_quant_kernelIN3c104HalfENS1_13Float8_e4m3fnELb0ELi128EEEvPT0_PfPKT_PKfi,"axG",@progbits,_ZN4vllm35silu_and_mul_per_block_quant_kernelIN3c104HalfENS1_13Float8_e4m3fnELb0ELi128EEEvPT0_PfPKT_PKfi,comdat
	.protected	_ZN4vllm35silu_and_mul_per_block_quant_kernelIN3c104HalfENS1_13Float8_e4m3fnELb0ELi128EEEvPT0_PfPKT_PKfi ; -- Begin function _ZN4vllm35silu_and_mul_per_block_quant_kernelIN3c104HalfENS1_13Float8_e4m3fnELb0ELi128EEEvPT0_PfPKT_PKfi
	.globl	_ZN4vllm35silu_and_mul_per_block_quant_kernelIN3c104HalfENS1_13Float8_e4m3fnELb0ELi128EEEvPT0_PfPKT_PKfi
	.p2align	8
	.type	_ZN4vllm35silu_and_mul_per_block_quant_kernelIN3c104HalfENS1_13Float8_e4m3fnELb0ELi128EEEvPT0_PfPKT_PKfi,@function
_ZN4vllm35silu_and_mul_per_block_quant_kernelIN3c104HalfENS1_13Float8_e4m3fnELb0ELi128EEEvPT0_PfPKT_PKfi: ; @_ZN4vllm35silu_and_mul_per_block_quant_kernelIN3c104HalfENS1_13Float8_e4m3fnELb0ELi128EEEvPT0_PfPKT_PKfi
; %bb.0:
	s_clause 0x2
	s_load_b32 s6, s[0:1], 0x20
	s_load_b64 s[8:9], s[0:1], 0x10
	s_load_b32 s5, s[0:1], 0x2c
	s_lshl_b32 s2, s15, 7
	v_lshlrev_b32_e32 v1, 1, v0
	s_mov_b32 s4, s15
	s_waitcnt lgkmcnt(0)
	s_mul_i32 s10, s14, s6
	s_ashr_i32 s7, s6, 31
	s_lshl_b32 s12, s10, 1
	s_delay_alu instid0(SALU_CYCLE_1) | instskip(NEXT) | instid1(SALU_CYCLE_1)
	s_ashr_i32 s13, s12, 31
	s_lshl_b64 s[12:13], s[12:13], 1
	s_delay_alu instid0(SALU_CYCLE_1) | instskip(SKIP_2) | instid1(SALU_CYCLE_1)
	s_add_u32 s11, s8, s12
	s_addc_u32 s12, s9, s13
	s_ashr_i32 s3, s2, 31
	s_lshl_b64 s[8:9], s[2:3], 1
	s_delay_alu instid0(SALU_CYCLE_1)
	s_add_u32 s8, s11, s8
	s_addc_u32 s9, s12, s9
	s_lshl_b64 s[6:7], s[6:7], 1
	global_load_u16 v2, v1, s[8:9]
	s_add_u32 s6, s8, s6
	s_addc_u32 s7, s9, s7
	s_waitcnt vmcnt(0)
	v_cvt_f32_f16_e32 v3, v2
	s_delay_alu instid0(VALU_DEP_1)
	v_mul_f32_e32 v4, 0xbfb8aa3b, v3
	global_load_u16 v1, v1, s[6:7]
	s_mov_b32 s6, 0xbfb8aa3b
	v_cmp_nlt_f32_e32 vcc_lo, 0x42ce8ed0, v3
	v_fma_mix_f32 v5, v2, s6, -v4 op_sel_hi:[1,0,0]
	v_rndne_f32_e32 v6, v4
	s_mov_b32 s6, 0xb2a5705f
	s_delay_alu instid0(VALU_DEP_2) | instid1(SALU_CYCLE_1)
	v_fma_mix_f32 v2, v2, s6, v5 op_sel_hi:[1,0,0]
	s_delay_alu instid0(VALU_DEP_2) | instskip(SKIP_1) | instid1(VALU_DEP_1)
	v_sub_f32_e32 v4, v4, v6
	s_mov_b32 s6, exec_lo
	v_add_f32_e32 v2, v4, v2
	v_cvt_i32_f32_e32 v4, v6
	s_delay_alu instid0(VALU_DEP_2) | instskip(SKIP_2) | instid1(VALU_DEP_1)
	v_exp_f32_e32 v2, v2
	s_waitcnt_depctr 0xfff
	v_ldexp_f32 v2, v2, v4
	v_cndmask_b32_e32 v2, 0, v2, vcc_lo
	v_cmp_ngt_f32_e32 vcc_lo, 0xc2b17218, v3
	s_delay_alu instid0(VALU_DEP_2) | instskip(NEXT) | instid1(VALU_DEP_1)
	v_cndmask_b32_e32 v2, 0x7f800000, v2, vcc_lo
	v_add_f32_e32 v2, 1.0, v2
	s_delay_alu instid0(VALU_DEP_1) | instskip(SKIP_1) | instid1(VALU_DEP_2)
	v_div_scale_f32 v4, null, v2, v2, 1.0
	v_div_scale_f32 v7, vcc_lo, 1.0, v2, 1.0
	v_rcp_f32_e32 v5, v4
	s_waitcnt_depctr 0xfff
	v_fma_f32 v6, -v4, v5, 1.0
	s_delay_alu instid0(VALU_DEP_1) | instskip(NEXT) | instid1(VALU_DEP_1)
	v_fmac_f32_e32 v5, v6, v5
	v_mul_f32_e32 v6, v7, v5
	s_delay_alu instid0(VALU_DEP_1) | instskip(NEXT) | instid1(VALU_DEP_1)
	v_fma_f32 v8, -v4, v6, v7
	v_fmac_f32_e32 v6, v8, v5
	s_delay_alu instid0(VALU_DEP_1) | instskip(NEXT) | instid1(VALU_DEP_1)
	v_fma_f32 v4, -v4, v6, v7
	v_div_fmas_f32 v4, v4, v5, v6
	s_delay_alu instid0(VALU_DEP_1) | instskip(NEXT) | instid1(VALU_DEP_1)
	v_div_fixup_f32 v2, v4, v2, 1.0
	v_mul_f32_e32 v2, v2, v3
	s_waitcnt vmcnt(0)
	v_cvt_f32_f16_e32 v1, v1
	s_delay_alu instid0(VALU_DEP_1) | instskip(NEXT) | instid1(VALU_DEP_1)
	v_dual_mul_f32 v1, v2, v1 :: v_dual_lshlrev_b32 v2, 2, v0
	v_and_b32_e32 v3, 0x7fffffff, v1
	ds_store_b32 v2, v3
	s_waitcnt lgkmcnt(0)
	s_barrier
	buffer_gl0_inv
	v_cmpx_gt_u32_e32 64, v0
	s_cbranch_execz .LBB13_2
; %bb.1:
	ds_load_2addr_stride64_b32 v[3:4], v2 offset1:1
	s_waitcnt lgkmcnt(0)
	v_dual_max_f32 v4, v4, v4 :: v_dual_max_f32 v3, v3, v3
	s_delay_alu instid0(VALU_DEP_1)
	v_max_f32_e32 v3, v3, v4
	ds_store_b32 v2, v3
.LBB13_2:
	s_or_b32 exec_lo, exec_lo, s6
	s_delay_alu instid0(SALU_CYCLE_1)
	s_mov_b32 s6, exec_lo
	s_waitcnt lgkmcnt(0)
	s_barrier
	buffer_gl0_inv
	v_cmpx_gt_u32_e32 32, v0
	s_cbranch_execz .LBB13_4
; %bb.3:
	ds_load_2addr_b32 v[3:4], v2 offset1:32
	s_waitcnt lgkmcnt(0)
	v_dual_max_f32 v4, v4, v4 :: v_dual_max_f32 v3, v3, v3
	s_delay_alu instid0(VALU_DEP_1)
	v_max_f32_e32 v3, v3, v4
	ds_store_b32 v2, v3
.LBB13_4:
	s_or_b32 exec_lo, exec_lo, s6
	s_delay_alu instid0(SALU_CYCLE_1)
	s_mov_b32 s6, exec_lo
	s_waitcnt lgkmcnt(0)
	s_barrier
	buffer_gl0_inv
	v_cmpx_gt_u32_e32 16, v0
	s_cbranch_execz .LBB13_6
; %bb.5:
	ds_load_2addr_b32 v[3:4], v2 offset1:16
	s_waitcnt lgkmcnt(0)
	v_dual_max_f32 v4, v4, v4 :: v_dual_max_f32 v3, v3, v3
	s_delay_alu instid0(VALU_DEP_1)
	v_max_f32_e32 v3, v3, v4
	ds_store_b32 v2, v3
.LBB13_6:
	;; [unrolled: 16-line block ×5, first 2 shown]
	s_or_b32 exec_lo, exec_lo, s6
	v_cmp_eq_u32_e32 vcc_lo, 0, v0
	s_waitcnt lgkmcnt(0)
	s_barrier
	buffer_gl0_inv
	s_and_saveexec_b32 s6, vcc_lo
	s_cbranch_execz .LBB13_14
; %bb.13:
	v_mov_b32_e32 v3, 0
	ds_load_b32 v3, v3 offset:4
	ds_load_b32 v4, v2
	s_waitcnt lgkmcnt(0)
	v_dual_max_f32 v3, v3, v3 :: v_dual_max_f32 v4, v4, v4
	s_delay_alu instid0(VALU_DEP_1)
	v_max_f32_e32 v3, v4, v3
	ds_store_b32 v2, v3
.LBB13_14:
	s_or_b32 exec_lo, exec_lo, s6
	s_load_b64 s[6:7], s[0:1], 0x0
	s_waitcnt lgkmcnt(0)
	s_barrier
	buffer_gl0_inv
	s_and_saveexec_b32 s11, vcc_lo
	s_cbranch_execz .LBB13_18
; %bb.15:
	v_mov_b32_e32 v2, 0
	ds_load_b32 v3, v2
	s_clause 0x1
	s_load_b64 s[8:9], s[0:1], 0x18
	s_load_b64 s[0:1], s[0:1], 0x8
	s_waitcnt lgkmcnt(0)
	s_cmp_eq_u64 s[8:9], 0
	v_div_scale_f32 v4, null, 0x43e00000, 0x43e00000, v3
	s_delay_alu instid0(VALU_DEP_1) | instskip(SKIP_2) | instid1(VALU_DEP_1)
	v_rcp_f32_e32 v5, v4
	s_waitcnt_depctr 0xfff
	v_fma_f32 v6, -v4, v5, 1.0
	v_fmac_f32_e32 v5, v6, v5
	v_div_scale_f32 v6, vcc_lo, v3, 0x43e00000, v3
	s_delay_alu instid0(VALU_DEP_1) | instskip(NEXT) | instid1(VALU_DEP_1)
	v_mul_f32_e32 v7, v6, v5
	v_fma_f32 v8, -v4, v7, v6
	s_delay_alu instid0(VALU_DEP_1) | instskip(NEXT) | instid1(VALU_DEP_1)
	v_fmac_f32_e32 v7, v8, v5
	v_fma_f32 v4, -v4, v7, v6
	s_delay_alu instid0(VALU_DEP_1) | instskip(NEXT) | instid1(VALU_DEP_1)
	v_div_fmas_f32 v4, v4, v5, v7
	v_div_fixup_f32 v3, v4, 0x43e00000, v3
	s_cbranch_scc1 .LBB13_17
; %bb.16:
	s_load_b32 s8, s[8:9], 0x0
	s_delay_alu instid0(VALU_DEP_1) | instskip(SKIP_2) | instid1(VALU_DEP_1)
	v_max_f32_e32 v3, v3, v3
	s_waitcnt lgkmcnt(0)
	v_max_f32_e64 v4, s8, s8
	v_min_f32_e32 v3, v3, v4
.LBB13_17:
	s_mul_i32 s8, s5, s14
	s_delay_alu instid0(VALU_DEP_1) | instskip(SKIP_3) | instid1(VALU_DEP_1)
	v_max_f32_e32 v3, v3, v3
	s_ashr_i32 s9, s8, 31
	s_ashr_i32 s5, s4, 31
	s_lshl_b64 s[8:9], s[8:9], 2
	v_max_f32_e32 v3, 0x36924925, v3
	s_add_u32 s8, s0, s8
	s_addc_u32 s9, s1, s9
	s_lshl_b64 s[0:1], s[4:5], 2
	s_delay_alu instid0(SALU_CYCLE_1)
	s_add_u32 s0, s8, s0
	s_addc_u32 s1, s9, s1
	ds_store_b32 v2, v3
	global_store_b32 v2, v3, s[0:1]
.LBB13_18:
	s_or_b32 exec_lo, exec_lo, s11
	v_mov_b32_e32 v2, 0
	s_waitcnt lgkmcnt(0)
	s_waitcnt_vscnt null, 0x0
	s_barrier
	buffer_gl0_inv
	s_mov_b32 s0, 0x43e00000
	ds_load_b32 v2, v2
	s_waitcnt lgkmcnt(0)
	v_div_scale_f32 v3, null, v2, v2, v1
	v_div_scale_f32 v6, vcc_lo, v1, v2, v1
	s_delay_alu instid0(VALU_DEP_2) | instskip(SKIP_2) | instid1(VALU_DEP_1)
	v_rcp_f32_e32 v4, v3
	s_waitcnt_depctr 0xfff
	v_fma_f32 v5, -v3, v4, 1.0
	v_fmac_f32_e32 v4, v5, v4
	s_delay_alu instid0(VALU_DEP_1) | instskip(NEXT) | instid1(VALU_DEP_1)
	v_mul_f32_e32 v5, v6, v4
	v_fma_f32 v7, -v3, v5, v6
	s_delay_alu instid0(VALU_DEP_1) | instskip(NEXT) | instid1(VALU_DEP_1)
	v_fmac_f32_e32 v5, v7, v4
	v_fma_f32 v3, -v3, v5, v6
	s_delay_alu instid0(VALU_DEP_1) | instskip(NEXT) | instid1(VALU_DEP_1)
	v_div_fmas_f32 v3, v3, v4, v5
	v_div_fixup_f32 v1, v3, v2, v1
	v_mov_b32_e32 v2, 0x7f
	s_delay_alu instid0(VALU_DEP_2) | instskip(SKIP_1) | instid1(VALU_DEP_1)
	v_minmax_f32 v1, v1, s0, 0xc3e00000
	s_mov_b32 s0, exec_lo
	v_and_b32_e32 v3, 0x7fffffff, v1
	s_delay_alu instid0(VALU_DEP_1)
	v_cmpx_gt_u32_e32 0x43f00000, v3
	s_cbranch_execz .LBB13_24
; %bb.19:
	s_mov_b32 s1, exec_lo
                                        ; implicit-def: $vgpr2
	v_cmpx_lt_u32_e32 0x3c7fffff, v3
	s_xor_b32 s1, exec_lo, s1
; %bb.20:
	v_bfe_u32 v2, v1, 20, 1
	s_delay_alu instid0(VALU_DEP_1) | instskip(NEXT) | instid1(VALU_DEP_1)
	v_add3_u32 v2, v1, v2, 0x407ffff
	v_lshrrev_b32_e32 v2, 20, v2
; %bb.21:
	s_and_not1_saveexec_b32 s1, s1
; %bb.22:
	v_add_f32_e64 v2, 0x46800000, |v1|
; %bb.23:
	s_or_b32 exec_lo, exec_lo, s1
.LBB13_24:
	s_delay_alu instid0(SALU_CYCLE_1)
	s_or_b32 exec_lo, exec_lo, s0
	s_ashr_i32 s0, s10, 31
	s_add_u32 s1, s6, s10
	v_lshrrev_b32_e32 v1, 24, v1
	s_addc_u32 s0, s7, s0
	s_add_u32 s1, s1, s2
	s_addc_u32 s0, s0, s3
	v_add_co_u32 v0, s1, s1, v0
	v_and_or_b32 v2, 0x80, v1, v2
	v_add_co_ci_u32_e64 v1, null, s0, 0, s1
	global_store_b8 v[0:1], v2, off
	s_nop 0
	s_sendmsg sendmsg(MSG_DEALLOC_VGPRS)
	s_endpgm
	.section	.rodata,"a",@progbits
	.p2align	6, 0x0
	.amdhsa_kernel _ZN4vllm35silu_and_mul_per_block_quant_kernelIN3c104HalfENS1_13Float8_e4m3fnELb0ELi128EEEvPT0_PfPKT_PKfi
		.amdhsa_group_segment_fixed_size 512
		.amdhsa_private_segment_fixed_size 0
		.amdhsa_kernarg_size 296
		.amdhsa_user_sgpr_count 14
		.amdhsa_user_sgpr_dispatch_ptr 0
		.amdhsa_user_sgpr_queue_ptr 0
		.amdhsa_user_sgpr_kernarg_segment_ptr 1
		.amdhsa_user_sgpr_dispatch_id 0
		.amdhsa_user_sgpr_private_segment_size 0
		.amdhsa_wavefront_size32 1
		.amdhsa_uses_dynamic_stack 0
		.amdhsa_enable_private_segment 0
		.amdhsa_system_sgpr_workgroup_id_x 1
		.amdhsa_system_sgpr_workgroup_id_y 1
		.amdhsa_system_sgpr_workgroup_id_z 0
		.amdhsa_system_sgpr_workgroup_info 0
		.amdhsa_system_vgpr_workitem_id 0
		.amdhsa_next_free_vgpr 9
		.amdhsa_next_free_sgpr 16
		.amdhsa_reserve_vcc 1
		.amdhsa_float_round_mode_32 0
		.amdhsa_float_round_mode_16_64 0
		.amdhsa_float_denorm_mode_32 3
		.amdhsa_float_denorm_mode_16_64 3
		.amdhsa_dx10_clamp 1
		.amdhsa_ieee_mode 1
		.amdhsa_fp16_overflow 0
		.amdhsa_workgroup_processor_mode 1
		.amdhsa_memory_ordered 1
		.amdhsa_forward_progress 0
		.amdhsa_shared_vgpr_count 0
		.amdhsa_exception_fp_ieee_invalid_op 0
		.amdhsa_exception_fp_denorm_src 0
		.amdhsa_exception_fp_ieee_div_zero 0
		.amdhsa_exception_fp_ieee_overflow 0
		.amdhsa_exception_fp_ieee_underflow 0
		.amdhsa_exception_fp_ieee_inexact 0
		.amdhsa_exception_int_div_zero 0
	.end_amdhsa_kernel
	.section	.text._ZN4vllm35silu_and_mul_per_block_quant_kernelIN3c104HalfENS1_13Float8_e4m3fnELb0ELi128EEEvPT0_PfPKT_PKfi,"axG",@progbits,_ZN4vllm35silu_and_mul_per_block_quant_kernelIN3c104HalfENS1_13Float8_e4m3fnELb0ELi128EEEvPT0_PfPKT_PKfi,comdat
.Lfunc_end13:
	.size	_ZN4vllm35silu_and_mul_per_block_quant_kernelIN3c104HalfENS1_13Float8_e4m3fnELb0ELi128EEEvPT0_PfPKT_PKfi, .Lfunc_end13-_ZN4vllm35silu_and_mul_per_block_quant_kernelIN3c104HalfENS1_13Float8_e4m3fnELb0ELi128EEEvPT0_PfPKT_PKfi
                                        ; -- End function
	.section	.AMDGPU.csdata,"",@progbits
; Kernel info:
; codeLenInByte = 1524
; NumSgprs: 18
; NumVgprs: 9
; ScratchSize: 0
; MemoryBound: 0
; FloatMode: 240
; IeeeMode: 1
; LDSByteSize: 512 bytes/workgroup (compile time only)
; SGPRBlocks: 2
; VGPRBlocks: 1
; NumSGPRsForWavesPerEU: 18
; NumVGPRsForWavesPerEU: 9
; Occupancy: 16
; WaveLimiterHint : 0
; COMPUTE_PGM_RSRC2:SCRATCH_EN: 0
; COMPUTE_PGM_RSRC2:USER_SGPR: 14
; COMPUTE_PGM_RSRC2:TRAP_HANDLER: 0
; COMPUTE_PGM_RSRC2:TGID_X_EN: 1
; COMPUTE_PGM_RSRC2:TGID_Y_EN: 1
; COMPUTE_PGM_RSRC2:TGID_Z_EN: 0
; COMPUTE_PGM_RSRC2:TIDIG_COMP_CNT: 0
	.section	.text._ZN4vllm35silu_and_mul_per_block_quant_kernelIN3c104HalfENS1_13Float8_e4m3fnELb1ELi64EEEvPT0_PfPKT_PKfi,"axG",@progbits,_ZN4vllm35silu_and_mul_per_block_quant_kernelIN3c104HalfENS1_13Float8_e4m3fnELb1ELi64EEEvPT0_PfPKT_PKfi,comdat
	.protected	_ZN4vllm35silu_and_mul_per_block_quant_kernelIN3c104HalfENS1_13Float8_e4m3fnELb1ELi64EEEvPT0_PfPKT_PKfi ; -- Begin function _ZN4vllm35silu_and_mul_per_block_quant_kernelIN3c104HalfENS1_13Float8_e4m3fnELb1ELi64EEEvPT0_PfPKT_PKfi
	.globl	_ZN4vllm35silu_and_mul_per_block_quant_kernelIN3c104HalfENS1_13Float8_e4m3fnELb1ELi64EEEvPT0_PfPKT_PKfi
	.p2align	8
	.type	_ZN4vllm35silu_and_mul_per_block_quant_kernelIN3c104HalfENS1_13Float8_e4m3fnELb1ELi64EEEvPT0_PfPKT_PKfi,@function
_ZN4vllm35silu_and_mul_per_block_quant_kernelIN3c104HalfENS1_13Float8_e4m3fnELb1ELi64EEEvPT0_PfPKT_PKfi: ; @_ZN4vllm35silu_and_mul_per_block_quant_kernelIN3c104HalfENS1_13Float8_e4m3fnELb1ELi64EEEvPT0_PfPKT_PKfi
; %bb.0:
	s_clause 0x2
	s_load_b32 s6, s[0:1], 0x20
	s_load_b64 s[8:9], s[0:1], 0x10
	s_load_b32 s3, s[0:1], 0x28
	v_lshlrev_b32_e32 v1, 1, v0
	s_mov_b32 s2, s15
	s_waitcnt lgkmcnt(0)
	s_mul_i32 s4, s14, s6
	s_ashr_i32 s7, s6, 31
	s_lshl_b32 s10, s4, 1
	s_lshl_b32 s4, s15, 6
	s_ashr_i32 s11, s10, 31
	s_delay_alu instid0(SALU_CYCLE_1) | instskip(NEXT) | instid1(SALU_CYCLE_1)
	s_lshl_b64 s[10:11], s[10:11], 1
	s_add_u32 s10, s8, s10
	s_addc_u32 s11, s9, s11
	s_ashr_i32 s5, s4, 31
	s_delay_alu instid0(SALU_CYCLE_1) | instskip(NEXT) | instid1(SALU_CYCLE_1)
	s_lshl_b64 s[8:9], s[4:5], 1
	s_add_u32 s8, s10, s8
	s_addc_u32 s9, s11, s9
	s_lshl_b64 s[10:11], s[6:7], 1
	global_load_u16 v2, v1, s[8:9]
	s_add_u32 s8, s8, s10
	s_addc_u32 s9, s9, s11
	s_mov_b32 s7, 0xbfb8aa3b
	s_waitcnt vmcnt(0)
	v_cvt_f32_f16_e32 v3, v2
	s_delay_alu instid0(VALU_DEP_1)
	v_mul_f32_e32 v4, 0xbfb8aa3b, v3
	global_load_u16 v1, v1, s[8:9]
	v_cmp_nlt_f32_e32 vcc_lo, 0x42ce8ed0, v3
	v_fma_mix_f32 v5, v2, s7, -v4 op_sel_hi:[1,0,0]
	v_rndne_f32_e32 v6, v4
	s_mov_b32 s7, 0xb2a5705f
	s_delay_alu instid0(VALU_DEP_2) | instid1(SALU_CYCLE_1)
	v_fma_mix_f32 v2, v2, s7, v5 op_sel_hi:[1,0,0]
	s_delay_alu instid0(VALU_DEP_2) | instskip(SKIP_1) | instid1(VALU_DEP_1)
	v_sub_f32_e32 v4, v4, v6
	s_mov_b32 s7, exec_lo
	v_add_f32_e32 v2, v4, v2
	v_cvt_i32_f32_e32 v4, v6
	s_delay_alu instid0(VALU_DEP_2) | instskip(SKIP_2) | instid1(VALU_DEP_1)
	v_exp_f32_e32 v2, v2
	s_waitcnt_depctr 0xfff
	v_ldexp_f32 v2, v2, v4
	v_cndmask_b32_e32 v2, 0, v2, vcc_lo
	v_cmp_ngt_f32_e32 vcc_lo, 0xc2b17218, v3
	s_delay_alu instid0(VALU_DEP_2) | instskip(NEXT) | instid1(VALU_DEP_1)
	v_cndmask_b32_e32 v2, 0x7f800000, v2, vcc_lo
	v_add_f32_e32 v2, 1.0, v2
	s_delay_alu instid0(VALU_DEP_1) | instskip(SKIP_1) | instid1(VALU_DEP_2)
	v_div_scale_f32 v4, null, v2, v2, 1.0
	v_div_scale_f32 v7, vcc_lo, 1.0, v2, 1.0
	v_rcp_f32_e32 v5, v4
	s_waitcnt_depctr 0xfff
	v_fma_f32 v6, -v4, v5, 1.0
	s_delay_alu instid0(VALU_DEP_1) | instskip(NEXT) | instid1(VALU_DEP_1)
	v_fmac_f32_e32 v5, v6, v5
	v_mul_f32_e32 v6, v7, v5
	s_delay_alu instid0(VALU_DEP_1) | instskip(NEXT) | instid1(VALU_DEP_1)
	v_fma_f32 v8, -v4, v6, v7
	v_fmac_f32_e32 v6, v8, v5
	s_delay_alu instid0(VALU_DEP_1) | instskip(NEXT) | instid1(VALU_DEP_1)
	v_fma_f32 v4, -v4, v6, v7
	v_div_fmas_f32 v4, v4, v5, v6
	s_delay_alu instid0(VALU_DEP_1) | instskip(NEXT) | instid1(VALU_DEP_1)
	v_div_fixup_f32 v2, v4, v2, 1.0
	v_mul_f32_e32 v2, v2, v3
	s_waitcnt vmcnt(0)
	v_cvt_f32_f16_e32 v1, v1
	s_delay_alu instid0(VALU_DEP_1) | instskip(NEXT) | instid1(VALU_DEP_1)
	v_dual_mul_f32 v1, v2, v1 :: v_dual_lshlrev_b32 v2, 2, v0
	v_and_b32_e32 v3, 0x7fffffff, v1
	ds_store_b32 v2, v3
	s_waitcnt lgkmcnt(0)
	s_barrier
	buffer_gl0_inv
	v_cmpx_gt_u32_e32 32, v0
	s_cbranch_execz .LBB14_2
; %bb.1:
	ds_load_2addr_b32 v[3:4], v2 offset1:32
	s_waitcnt lgkmcnt(0)
	v_dual_max_f32 v4, v4, v4 :: v_dual_max_f32 v3, v3, v3
	s_delay_alu instid0(VALU_DEP_1)
	v_max_f32_e32 v3, v3, v4
	ds_store_b32 v2, v3
.LBB14_2:
	s_or_b32 exec_lo, exec_lo, s7
	s_delay_alu instid0(SALU_CYCLE_1)
	s_mov_b32 s7, exec_lo
	s_waitcnt lgkmcnt(0)
	s_barrier
	buffer_gl0_inv
	v_cmpx_gt_u32_e32 16, v0
	s_cbranch_execz .LBB14_4
; %bb.3:
	ds_load_2addr_b32 v[3:4], v2 offset1:16
	s_waitcnt lgkmcnt(0)
	v_dual_max_f32 v4, v4, v4 :: v_dual_max_f32 v3, v3, v3
	s_delay_alu instid0(VALU_DEP_1)
	v_max_f32_e32 v3, v3, v4
	ds_store_b32 v2, v3
.LBB14_4:
	s_or_b32 exec_lo, exec_lo, s7
	s_delay_alu instid0(SALU_CYCLE_1)
	s_mov_b32 s7, exec_lo
	;; [unrolled: 16-line block ×4, first 2 shown]
	s_waitcnt lgkmcnt(0)
	s_barrier
	buffer_gl0_inv
	v_cmpx_gt_u32_e32 2, v0
	s_cbranch_execz .LBB14_10
; %bb.9:
	ds_load_2addr_b32 v[3:4], v2 offset1:2
	s_waitcnt lgkmcnt(0)
	v_dual_max_f32 v4, v4, v4 :: v_dual_max_f32 v3, v3, v3
	s_delay_alu instid0(VALU_DEP_1)
	v_max_f32_e32 v3, v3, v4
	ds_store_b32 v2, v3
.LBB14_10:
	s_or_b32 exec_lo, exec_lo, s7
	v_cmp_eq_u32_e32 vcc_lo, 0, v0
	s_waitcnt lgkmcnt(0)
	s_barrier
	buffer_gl0_inv
	s_and_saveexec_b32 s7, vcc_lo
	s_cbranch_execz .LBB14_12
; %bb.11:
	v_mov_b32_e32 v3, 0
	ds_load_b32 v3, v3 offset:4
	ds_load_b32 v4, v2
	s_waitcnt lgkmcnt(0)
	v_dual_max_f32 v3, v3, v3 :: v_dual_max_f32 v4, v4, v4
	s_delay_alu instid0(VALU_DEP_1)
	v_max_f32_e32 v3, v4, v3
	ds_store_b32 v2, v3
.LBB14_12:
	s_or_b32 exec_lo, exec_lo, s7
	s_load_b64 s[8:9], s[0:1], 0x0
	s_ashr_i32 s15, s14, 31
	s_waitcnt lgkmcnt(0)
	s_barrier
	buffer_gl0_inv
	s_and_saveexec_b32 s7, vcc_lo
	s_cbranch_execz .LBB14_16
; %bb.13:
	v_mov_b32_e32 v2, 0
	ds_load_b32 v3, v2
	s_clause 0x1
	s_load_b64 s[10:11], s[0:1], 0x18
	s_load_b64 s[0:1], s[0:1], 0x8
	s_waitcnt lgkmcnt(0)
	s_cmp_eq_u64 s[10:11], 0
	v_div_scale_f32 v4, null, 0x43e00000, 0x43e00000, v3
	s_delay_alu instid0(VALU_DEP_1) | instskip(SKIP_2) | instid1(VALU_DEP_1)
	v_rcp_f32_e32 v5, v4
	s_waitcnt_depctr 0xfff
	v_fma_f32 v6, -v4, v5, 1.0
	v_fmac_f32_e32 v5, v6, v5
	v_div_scale_f32 v6, vcc_lo, v3, 0x43e00000, v3
	s_delay_alu instid0(VALU_DEP_1) | instskip(NEXT) | instid1(VALU_DEP_1)
	v_mul_f32_e32 v7, v6, v5
	v_fma_f32 v8, -v4, v7, v6
	s_delay_alu instid0(VALU_DEP_1) | instskip(NEXT) | instid1(VALU_DEP_1)
	v_fmac_f32_e32 v7, v8, v5
	v_fma_f32 v4, -v4, v7, v6
	s_delay_alu instid0(VALU_DEP_1) | instskip(NEXT) | instid1(VALU_DEP_1)
	v_div_fmas_f32 v4, v4, v5, v7
	v_div_fixup_f32 v3, v4, 0x43e00000, v3
	s_cbranch_scc1 .LBB14_15
; %bb.14:
	s_load_b32 s10, s[10:11], 0x0
	s_delay_alu instid0(VALU_DEP_1) | instskip(SKIP_2) | instid1(VALU_DEP_1)
	v_max_f32_e32 v3, v3, v3
	s_waitcnt lgkmcnt(0)
	v_max_f32_e64 v4, s10, s10
	v_min_f32_e32 v3, v3, v4
.LBB14_15:
	s_mul_i32 s2, s3, s2
	s_delay_alu instid0(VALU_DEP_1) | instskip(SKIP_1) | instid1(SALU_CYCLE_1)
	v_max_f32_e32 v3, v3, v3
	s_ashr_i32 s3, s2, 31
	s_lshl_b64 s[2:3], s[2:3], 2
	s_delay_alu instid0(VALU_DEP_1) | instskip(SKIP_3) | instid1(SALU_CYCLE_1)
	v_max_f32_e32 v3, 0x36924925, v3
	s_add_u32 s2, s0, s2
	s_addc_u32 s3, s1, s3
	s_lshl_b64 s[0:1], s[14:15], 2
	s_add_u32 s0, s2, s0
	s_addc_u32 s1, s3, s1
	ds_store_b32 v2, v3
	global_store_b32 v2, v3, s[0:1]
.LBB14_16:
	s_or_b32 exec_lo, exec_lo, s7
	v_mov_b32_e32 v2, 0
	s_waitcnt lgkmcnt(0)
	s_waitcnt_vscnt null, 0x0
	s_barrier
	buffer_gl0_inv
	s_mov_b32 s0, 0x43e00000
	ds_load_b32 v2, v2
	s_waitcnt lgkmcnt(0)
	v_div_scale_f32 v3, null, v2, v2, v1
	v_div_scale_f32 v6, vcc_lo, v1, v2, v1
	s_delay_alu instid0(VALU_DEP_2) | instskip(SKIP_2) | instid1(VALU_DEP_1)
	v_rcp_f32_e32 v4, v3
	s_waitcnt_depctr 0xfff
	v_fma_f32 v5, -v3, v4, 1.0
	v_fmac_f32_e32 v4, v5, v4
	s_delay_alu instid0(VALU_DEP_1) | instskip(NEXT) | instid1(VALU_DEP_1)
	v_mul_f32_e32 v5, v6, v4
	v_fma_f32 v7, -v3, v5, v6
	s_delay_alu instid0(VALU_DEP_1) | instskip(NEXT) | instid1(VALU_DEP_1)
	v_fmac_f32_e32 v5, v7, v4
	v_fma_f32 v3, -v3, v5, v6
	s_delay_alu instid0(VALU_DEP_1) | instskip(NEXT) | instid1(VALU_DEP_1)
	v_div_fmas_f32 v3, v3, v4, v5
	v_div_fixup_f32 v1, v3, v2, v1
	v_mov_b32_e32 v2, 0x7f
	s_delay_alu instid0(VALU_DEP_2) | instskip(SKIP_1) | instid1(VALU_DEP_1)
	v_minmax_f32 v1, v1, s0, 0xc3e00000
	s_mov_b32 s0, exec_lo
	v_and_b32_e32 v3, 0x7fffffff, v1
	s_delay_alu instid0(VALU_DEP_1)
	v_cmpx_gt_u32_e32 0x43f00000, v3
	s_cbranch_execz .LBB14_22
; %bb.17:
	s_mov_b32 s1, exec_lo
                                        ; implicit-def: $vgpr2
	v_cmpx_lt_u32_e32 0x3c7fffff, v3
	s_xor_b32 s1, exec_lo, s1
; %bb.18:
	v_bfe_u32 v2, v1, 20, 1
	s_delay_alu instid0(VALU_DEP_1) | instskip(NEXT) | instid1(VALU_DEP_1)
	v_add3_u32 v2, v1, v2, 0x407ffff
	v_lshrrev_b32_e32 v2, 20, v2
; %bb.19:
	s_and_not1_saveexec_b32 s1, s1
; %bb.20:
	v_add_f32_e64 v2, 0x46800000, |v1|
; %bb.21:
	s_or_b32 exec_lo, exec_lo, s1
.LBB14_22:
	s_delay_alu instid0(SALU_CYCLE_1)
	s_or_b32 exec_lo, exec_lo, s0
	s_mul_i32 s0, s14, s6
	v_lshrrev_b32_e32 v1, 24, v1
	s_ashr_i32 s1, s0, 31
	s_add_u32 s0, s8, s0
	s_addc_u32 s1, s9, s1
	s_add_u32 s0, s0, s4
	s_addc_u32 s1, s1, s5
	v_add_co_u32 v0, s0, s0, v0
	v_and_or_b32 v2, 0x80, v1, v2
	v_add_co_ci_u32_e64 v1, null, s1, 0, s0
	global_store_b8 v[0:1], v2, off
	s_nop 0
	s_sendmsg sendmsg(MSG_DEALLOC_VGPRS)
	s_endpgm
	.section	.rodata,"a",@progbits
	.p2align	6, 0x0
	.amdhsa_kernel _ZN4vllm35silu_and_mul_per_block_quant_kernelIN3c104HalfENS1_13Float8_e4m3fnELb1ELi64EEEvPT0_PfPKT_PKfi
		.amdhsa_group_segment_fixed_size 256
		.amdhsa_private_segment_fixed_size 0
		.amdhsa_kernarg_size 296
		.amdhsa_user_sgpr_count 14
		.amdhsa_user_sgpr_dispatch_ptr 0
		.amdhsa_user_sgpr_queue_ptr 0
		.amdhsa_user_sgpr_kernarg_segment_ptr 1
		.amdhsa_user_sgpr_dispatch_id 0
		.amdhsa_user_sgpr_private_segment_size 0
		.amdhsa_wavefront_size32 1
		.amdhsa_uses_dynamic_stack 0
		.amdhsa_enable_private_segment 0
		.amdhsa_system_sgpr_workgroup_id_x 1
		.amdhsa_system_sgpr_workgroup_id_y 1
		.amdhsa_system_sgpr_workgroup_id_z 0
		.amdhsa_system_sgpr_workgroup_info 0
		.amdhsa_system_vgpr_workitem_id 0
		.amdhsa_next_free_vgpr 9
		.amdhsa_next_free_sgpr 16
		.amdhsa_reserve_vcc 1
		.amdhsa_float_round_mode_32 0
		.amdhsa_float_round_mode_16_64 0
		.amdhsa_float_denorm_mode_32 3
		.amdhsa_float_denorm_mode_16_64 3
		.amdhsa_dx10_clamp 1
		.amdhsa_ieee_mode 1
		.amdhsa_fp16_overflow 0
		.amdhsa_workgroup_processor_mode 1
		.amdhsa_memory_ordered 1
		.amdhsa_forward_progress 0
		.amdhsa_shared_vgpr_count 0
		.amdhsa_exception_fp_ieee_invalid_op 0
		.amdhsa_exception_fp_denorm_src 0
		.amdhsa_exception_fp_ieee_div_zero 0
		.amdhsa_exception_fp_ieee_overflow 0
		.amdhsa_exception_fp_ieee_underflow 0
		.amdhsa_exception_fp_ieee_inexact 0
		.amdhsa_exception_int_div_zero 0
	.end_amdhsa_kernel
	.section	.text._ZN4vllm35silu_and_mul_per_block_quant_kernelIN3c104HalfENS1_13Float8_e4m3fnELb1ELi64EEEvPT0_PfPKT_PKfi,"axG",@progbits,_ZN4vllm35silu_and_mul_per_block_quant_kernelIN3c104HalfENS1_13Float8_e4m3fnELb1ELi64EEEvPT0_PfPKT_PKfi,comdat
.Lfunc_end14:
	.size	_ZN4vllm35silu_and_mul_per_block_quant_kernelIN3c104HalfENS1_13Float8_e4m3fnELb1ELi64EEEvPT0_PfPKT_PKfi, .Lfunc_end14-_ZN4vllm35silu_and_mul_per_block_quant_kernelIN3c104HalfENS1_13Float8_e4m3fnELb1ELi64EEEvPT0_PfPKT_PKfi
                                        ; -- End function
	.section	.AMDGPU.csdata,"",@progbits
; Kernel info:
; codeLenInByte = 1452
; NumSgprs: 18
; NumVgprs: 9
; ScratchSize: 0
; MemoryBound: 0
; FloatMode: 240
; IeeeMode: 1
; LDSByteSize: 256 bytes/workgroup (compile time only)
; SGPRBlocks: 2
; VGPRBlocks: 1
; NumSGPRsForWavesPerEU: 18
; NumVGPRsForWavesPerEU: 9
; Occupancy: 16
; WaveLimiterHint : 0
; COMPUTE_PGM_RSRC2:SCRATCH_EN: 0
; COMPUTE_PGM_RSRC2:USER_SGPR: 14
; COMPUTE_PGM_RSRC2:TRAP_HANDLER: 0
; COMPUTE_PGM_RSRC2:TGID_X_EN: 1
; COMPUTE_PGM_RSRC2:TGID_Y_EN: 1
; COMPUTE_PGM_RSRC2:TGID_Z_EN: 0
; COMPUTE_PGM_RSRC2:TIDIG_COMP_CNT: 0
	.section	.text._ZN4vllm35silu_and_mul_per_block_quant_kernelIN3c104HalfENS1_13Float8_e4m3fnELb0ELi64EEEvPT0_PfPKT_PKfi,"axG",@progbits,_ZN4vllm35silu_and_mul_per_block_quant_kernelIN3c104HalfENS1_13Float8_e4m3fnELb0ELi64EEEvPT0_PfPKT_PKfi,comdat
	.protected	_ZN4vllm35silu_and_mul_per_block_quant_kernelIN3c104HalfENS1_13Float8_e4m3fnELb0ELi64EEEvPT0_PfPKT_PKfi ; -- Begin function _ZN4vllm35silu_and_mul_per_block_quant_kernelIN3c104HalfENS1_13Float8_e4m3fnELb0ELi64EEEvPT0_PfPKT_PKfi
	.globl	_ZN4vllm35silu_and_mul_per_block_quant_kernelIN3c104HalfENS1_13Float8_e4m3fnELb0ELi64EEEvPT0_PfPKT_PKfi
	.p2align	8
	.type	_ZN4vllm35silu_and_mul_per_block_quant_kernelIN3c104HalfENS1_13Float8_e4m3fnELb0ELi64EEEvPT0_PfPKT_PKfi,@function
_ZN4vllm35silu_and_mul_per_block_quant_kernelIN3c104HalfENS1_13Float8_e4m3fnELb0ELi64EEEvPT0_PfPKT_PKfi: ; @_ZN4vllm35silu_and_mul_per_block_quant_kernelIN3c104HalfENS1_13Float8_e4m3fnELb0ELi64EEEvPT0_PfPKT_PKfi
; %bb.0:
	s_clause 0x2
	s_load_b32 s6, s[0:1], 0x20
	s_load_b64 s[8:9], s[0:1], 0x10
	s_load_b32 s5, s[0:1], 0x2c
	s_lshl_b32 s2, s15, 6
	v_lshlrev_b32_e32 v1, 1, v0
	s_mov_b32 s4, s15
	s_waitcnt lgkmcnt(0)
	s_mul_i32 s10, s14, s6
	s_ashr_i32 s7, s6, 31
	s_lshl_b32 s12, s10, 1
	s_delay_alu instid0(SALU_CYCLE_1) | instskip(NEXT) | instid1(SALU_CYCLE_1)
	s_ashr_i32 s13, s12, 31
	s_lshl_b64 s[12:13], s[12:13], 1
	s_delay_alu instid0(SALU_CYCLE_1) | instskip(SKIP_2) | instid1(SALU_CYCLE_1)
	s_add_u32 s11, s8, s12
	s_addc_u32 s12, s9, s13
	s_ashr_i32 s3, s2, 31
	s_lshl_b64 s[8:9], s[2:3], 1
	s_delay_alu instid0(SALU_CYCLE_1)
	s_add_u32 s8, s11, s8
	s_addc_u32 s9, s12, s9
	s_lshl_b64 s[6:7], s[6:7], 1
	global_load_u16 v2, v1, s[8:9]
	s_add_u32 s6, s8, s6
	s_addc_u32 s7, s9, s7
	s_waitcnt vmcnt(0)
	v_cvt_f32_f16_e32 v3, v2
	s_delay_alu instid0(VALU_DEP_1)
	v_mul_f32_e32 v4, 0xbfb8aa3b, v3
	global_load_u16 v1, v1, s[6:7]
	s_mov_b32 s6, 0xbfb8aa3b
	v_cmp_nlt_f32_e32 vcc_lo, 0x42ce8ed0, v3
	v_fma_mix_f32 v5, v2, s6, -v4 op_sel_hi:[1,0,0]
	v_rndne_f32_e32 v6, v4
	s_mov_b32 s6, 0xb2a5705f
	s_delay_alu instid0(VALU_DEP_2) | instid1(SALU_CYCLE_1)
	v_fma_mix_f32 v2, v2, s6, v5 op_sel_hi:[1,0,0]
	s_delay_alu instid0(VALU_DEP_2) | instskip(SKIP_1) | instid1(VALU_DEP_1)
	v_sub_f32_e32 v4, v4, v6
	s_mov_b32 s6, exec_lo
	v_add_f32_e32 v2, v4, v2
	v_cvt_i32_f32_e32 v4, v6
	s_delay_alu instid0(VALU_DEP_2) | instskip(SKIP_2) | instid1(VALU_DEP_1)
	v_exp_f32_e32 v2, v2
	s_waitcnt_depctr 0xfff
	v_ldexp_f32 v2, v2, v4
	v_cndmask_b32_e32 v2, 0, v2, vcc_lo
	v_cmp_ngt_f32_e32 vcc_lo, 0xc2b17218, v3
	s_delay_alu instid0(VALU_DEP_2) | instskip(NEXT) | instid1(VALU_DEP_1)
	v_cndmask_b32_e32 v2, 0x7f800000, v2, vcc_lo
	v_add_f32_e32 v2, 1.0, v2
	s_delay_alu instid0(VALU_DEP_1) | instskip(SKIP_1) | instid1(VALU_DEP_2)
	v_div_scale_f32 v4, null, v2, v2, 1.0
	v_div_scale_f32 v7, vcc_lo, 1.0, v2, 1.0
	v_rcp_f32_e32 v5, v4
	s_waitcnt_depctr 0xfff
	v_fma_f32 v6, -v4, v5, 1.0
	s_delay_alu instid0(VALU_DEP_1) | instskip(NEXT) | instid1(VALU_DEP_1)
	v_fmac_f32_e32 v5, v6, v5
	v_mul_f32_e32 v6, v7, v5
	s_delay_alu instid0(VALU_DEP_1) | instskip(NEXT) | instid1(VALU_DEP_1)
	v_fma_f32 v8, -v4, v6, v7
	v_fmac_f32_e32 v6, v8, v5
	s_delay_alu instid0(VALU_DEP_1) | instskip(NEXT) | instid1(VALU_DEP_1)
	v_fma_f32 v4, -v4, v6, v7
	v_div_fmas_f32 v4, v4, v5, v6
	s_delay_alu instid0(VALU_DEP_1) | instskip(NEXT) | instid1(VALU_DEP_1)
	v_div_fixup_f32 v2, v4, v2, 1.0
	v_mul_f32_e32 v2, v2, v3
	s_waitcnt vmcnt(0)
	v_cvt_f32_f16_e32 v1, v1
	s_delay_alu instid0(VALU_DEP_1) | instskip(NEXT) | instid1(VALU_DEP_1)
	v_dual_mul_f32 v1, v2, v1 :: v_dual_lshlrev_b32 v2, 2, v0
	v_and_b32_e32 v3, 0x7fffffff, v1
	ds_store_b32 v2, v3
	s_waitcnt lgkmcnt(0)
	s_barrier
	buffer_gl0_inv
	v_cmpx_gt_u32_e32 32, v0
	s_cbranch_execz .LBB15_2
; %bb.1:
	ds_load_2addr_b32 v[3:4], v2 offset1:32
	s_waitcnt lgkmcnt(0)
	v_dual_max_f32 v4, v4, v4 :: v_dual_max_f32 v3, v3, v3
	s_delay_alu instid0(VALU_DEP_1)
	v_max_f32_e32 v3, v3, v4
	ds_store_b32 v2, v3
.LBB15_2:
	s_or_b32 exec_lo, exec_lo, s6
	s_delay_alu instid0(SALU_CYCLE_1)
	s_mov_b32 s6, exec_lo
	s_waitcnt lgkmcnt(0)
	s_barrier
	buffer_gl0_inv
	v_cmpx_gt_u32_e32 16, v0
	s_cbranch_execz .LBB15_4
; %bb.3:
	ds_load_2addr_b32 v[3:4], v2 offset1:16
	s_waitcnt lgkmcnt(0)
	v_dual_max_f32 v4, v4, v4 :: v_dual_max_f32 v3, v3, v3
	s_delay_alu instid0(VALU_DEP_1)
	v_max_f32_e32 v3, v3, v4
	ds_store_b32 v2, v3
.LBB15_4:
	s_or_b32 exec_lo, exec_lo, s6
	s_delay_alu instid0(SALU_CYCLE_1)
	s_mov_b32 s6, exec_lo
	;; [unrolled: 16-line block ×4, first 2 shown]
	s_waitcnt lgkmcnt(0)
	s_barrier
	buffer_gl0_inv
	v_cmpx_gt_u32_e32 2, v0
	s_cbranch_execz .LBB15_10
; %bb.9:
	ds_load_2addr_b32 v[3:4], v2 offset1:2
	s_waitcnt lgkmcnt(0)
	v_dual_max_f32 v4, v4, v4 :: v_dual_max_f32 v3, v3, v3
	s_delay_alu instid0(VALU_DEP_1)
	v_max_f32_e32 v3, v3, v4
	ds_store_b32 v2, v3
.LBB15_10:
	s_or_b32 exec_lo, exec_lo, s6
	v_cmp_eq_u32_e32 vcc_lo, 0, v0
	s_waitcnt lgkmcnt(0)
	s_barrier
	buffer_gl0_inv
	s_and_saveexec_b32 s6, vcc_lo
	s_cbranch_execz .LBB15_12
; %bb.11:
	v_mov_b32_e32 v3, 0
	ds_load_b32 v3, v3 offset:4
	ds_load_b32 v4, v2
	s_waitcnt lgkmcnt(0)
	v_dual_max_f32 v3, v3, v3 :: v_dual_max_f32 v4, v4, v4
	s_delay_alu instid0(VALU_DEP_1)
	v_max_f32_e32 v3, v4, v3
	ds_store_b32 v2, v3
.LBB15_12:
	s_or_b32 exec_lo, exec_lo, s6
	s_load_b64 s[6:7], s[0:1], 0x0
	s_waitcnt lgkmcnt(0)
	s_barrier
	buffer_gl0_inv
	s_and_saveexec_b32 s11, vcc_lo
	s_cbranch_execz .LBB15_16
; %bb.13:
	v_mov_b32_e32 v2, 0
	ds_load_b32 v3, v2
	s_clause 0x1
	s_load_b64 s[8:9], s[0:1], 0x18
	s_load_b64 s[0:1], s[0:1], 0x8
	s_waitcnt lgkmcnt(0)
	s_cmp_eq_u64 s[8:9], 0
	v_div_scale_f32 v4, null, 0x43e00000, 0x43e00000, v3
	s_delay_alu instid0(VALU_DEP_1) | instskip(SKIP_2) | instid1(VALU_DEP_1)
	v_rcp_f32_e32 v5, v4
	s_waitcnt_depctr 0xfff
	v_fma_f32 v6, -v4, v5, 1.0
	v_fmac_f32_e32 v5, v6, v5
	v_div_scale_f32 v6, vcc_lo, v3, 0x43e00000, v3
	s_delay_alu instid0(VALU_DEP_1) | instskip(NEXT) | instid1(VALU_DEP_1)
	v_mul_f32_e32 v7, v6, v5
	v_fma_f32 v8, -v4, v7, v6
	s_delay_alu instid0(VALU_DEP_1) | instskip(NEXT) | instid1(VALU_DEP_1)
	v_fmac_f32_e32 v7, v8, v5
	v_fma_f32 v4, -v4, v7, v6
	s_delay_alu instid0(VALU_DEP_1) | instskip(NEXT) | instid1(VALU_DEP_1)
	v_div_fmas_f32 v4, v4, v5, v7
	v_div_fixup_f32 v3, v4, 0x43e00000, v3
	s_cbranch_scc1 .LBB15_15
; %bb.14:
	s_load_b32 s8, s[8:9], 0x0
	s_delay_alu instid0(VALU_DEP_1) | instskip(SKIP_2) | instid1(VALU_DEP_1)
	v_max_f32_e32 v3, v3, v3
	s_waitcnt lgkmcnt(0)
	v_max_f32_e64 v4, s8, s8
	v_min_f32_e32 v3, v3, v4
.LBB15_15:
	s_mul_i32 s8, s5, s14
	s_delay_alu instid0(VALU_DEP_1) | instskip(SKIP_3) | instid1(VALU_DEP_1)
	v_max_f32_e32 v3, v3, v3
	s_ashr_i32 s9, s8, 31
	s_ashr_i32 s5, s4, 31
	s_lshl_b64 s[8:9], s[8:9], 2
	v_max_f32_e32 v3, 0x36924925, v3
	s_add_u32 s8, s0, s8
	s_addc_u32 s9, s1, s9
	s_lshl_b64 s[0:1], s[4:5], 2
	s_delay_alu instid0(SALU_CYCLE_1)
	s_add_u32 s0, s8, s0
	s_addc_u32 s1, s9, s1
	ds_store_b32 v2, v3
	global_store_b32 v2, v3, s[0:1]
.LBB15_16:
	s_or_b32 exec_lo, exec_lo, s11
	v_mov_b32_e32 v2, 0
	s_waitcnt lgkmcnt(0)
	s_waitcnt_vscnt null, 0x0
	s_barrier
	buffer_gl0_inv
	s_mov_b32 s0, 0x43e00000
	ds_load_b32 v2, v2
	s_waitcnt lgkmcnt(0)
	v_div_scale_f32 v3, null, v2, v2, v1
	v_div_scale_f32 v6, vcc_lo, v1, v2, v1
	s_delay_alu instid0(VALU_DEP_2) | instskip(SKIP_2) | instid1(VALU_DEP_1)
	v_rcp_f32_e32 v4, v3
	s_waitcnt_depctr 0xfff
	v_fma_f32 v5, -v3, v4, 1.0
	v_fmac_f32_e32 v4, v5, v4
	s_delay_alu instid0(VALU_DEP_1) | instskip(NEXT) | instid1(VALU_DEP_1)
	v_mul_f32_e32 v5, v6, v4
	v_fma_f32 v7, -v3, v5, v6
	s_delay_alu instid0(VALU_DEP_1) | instskip(NEXT) | instid1(VALU_DEP_1)
	v_fmac_f32_e32 v5, v7, v4
	v_fma_f32 v3, -v3, v5, v6
	s_delay_alu instid0(VALU_DEP_1) | instskip(NEXT) | instid1(VALU_DEP_1)
	v_div_fmas_f32 v3, v3, v4, v5
	v_div_fixup_f32 v1, v3, v2, v1
	v_mov_b32_e32 v2, 0x7f
	s_delay_alu instid0(VALU_DEP_2) | instskip(SKIP_1) | instid1(VALU_DEP_1)
	v_minmax_f32 v1, v1, s0, 0xc3e00000
	s_mov_b32 s0, exec_lo
	v_and_b32_e32 v3, 0x7fffffff, v1
	s_delay_alu instid0(VALU_DEP_1)
	v_cmpx_gt_u32_e32 0x43f00000, v3
	s_cbranch_execz .LBB15_22
; %bb.17:
	s_mov_b32 s1, exec_lo
                                        ; implicit-def: $vgpr2
	v_cmpx_lt_u32_e32 0x3c7fffff, v3
	s_xor_b32 s1, exec_lo, s1
; %bb.18:
	v_bfe_u32 v2, v1, 20, 1
	s_delay_alu instid0(VALU_DEP_1) | instskip(NEXT) | instid1(VALU_DEP_1)
	v_add3_u32 v2, v1, v2, 0x407ffff
	v_lshrrev_b32_e32 v2, 20, v2
; %bb.19:
	s_and_not1_saveexec_b32 s1, s1
; %bb.20:
	v_add_f32_e64 v2, 0x46800000, |v1|
; %bb.21:
	s_or_b32 exec_lo, exec_lo, s1
.LBB15_22:
	s_delay_alu instid0(SALU_CYCLE_1)
	s_or_b32 exec_lo, exec_lo, s0
	s_ashr_i32 s0, s10, 31
	s_add_u32 s1, s6, s10
	v_lshrrev_b32_e32 v1, 24, v1
	s_addc_u32 s0, s7, s0
	s_add_u32 s1, s1, s2
	s_addc_u32 s0, s0, s3
	v_add_co_u32 v0, s1, s1, v0
	v_and_or_b32 v2, 0x80, v1, v2
	v_add_co_ci_u32_e64 v1, null, s0, 0, s1
	global_store_b8 v[0:1], v2, off
	s_nop 0
	s_sendmsg sendmsg(MSG_DEALLOC_VGPRS)
	s_endpgm
	.section	.rodata,"a",@progbits
	.p2align	6, 0x0
	.amdhsa_kernel _ZN4vllm35silu_and_mul_per_block_quant_kernelIN3c104HalfENS1_13Float8_e4m3fnELb0ELi64EEEvPT0_PfPKT_PKfi
		.amdhsa_group_segment_fixed_size 256
		.amdhsa_private_segment_fixed_size 0
		.amdhsa_kernarg_size 296
		.amdhsa_user_sgpr_count 14
		.amdhsa_user_sgpr_dispatch_ptr 0
		.amdhsa_user_sgpr_queue_ptr 0
		.amdhsa_user_sgpr_kernarg_segment_ptr 1
		.amdhsa_user_sgpr_dispatch_id 0
		.amdhsa_user_sgpr_private_segment_size 0
		.amdhsa_wavefront_size32 1
		.amdhsa_uses_dynamic_stack 0
		.amdhsa_enable_private_segment 0
		.amdhsa_system_sgpr_workgroup_id_x 1
		.amdhsa_system_sgpr_workgroup_id_y 1
		.amdhsa_system_sgpr_workgroup_id_z 0
		.amdhsa_system_sgpr_workgroup_info 0
		.amdhsa_system_vgpr_workitem_id 0
		.amdhsa_next_free_vgpr 9
		.amdhsa_next_free_sgpr 16
		.amdhsa_reserve_vcc 1
		.amdhsa_float_round_mode_32 0
		.amdhsa_float_round_mode_16_64 0
		.amdhsa_float_denorm_mode_32 3
		.amdhsa_float_denorm_mode_16_64 3
		.amdhsa_dx10_clamp 1
		.amdhsa_ieee_mode 1
		.amdhsa_fp16_overflow 0
		.amdhsa_workgroup_processor_mode 1
		.amdhsa_memory_ordered 1
		.amdhsa_forward_progress 0
		.amdhsa_shared_vgpr_count 0
		.amdhsa_exception_fp_ieee_invalid_op 0
		.amdhsa_exception_fp_denorm_src 0
		.amdhsa_exception_fp_ieee_div_zero 0
		.amdhsa_exception_fp_ieee_overflow 0
		.amdhsa_exception_fp_ieee_underflow 0
		.amdhsa_exception_fp_ieee_inexact 0
		.amdhsa_exception_int_div_zero 0
	.end_amdhsa_kernel
	.section	.text._ZN4vllm35silu_and_mul_per_block_quant_kernelIN3c104HalfENS1_13Float8_e4m3fnELb0ELi64EEEvPT0_PfPKT_PKfi,"axG",@progbits,_ZN4vllm35silu_and_mul_per_block_quant_kernelIN3c104HalfENS1_13Float8_e4m3fnELb0ELi64EEEvPT0_PfPKT_PKfi,comdat
.Lfunc_end15:
	.size	_ZN4vllm35silu_and_mul_per_block_quant_kernelIN3c104HalfENS1_13Float8_e4m3fnELb0ELi64EEEvPT0_PfPKT_PKfi, .Lfunc_end15-_ZN4vllm35silu_and_mul_per_block_quant_kernelIN3c104HalfENS1_13Float8_e4m3fnELb0ELi64EEEvPT0_PfPKT_PKfi
                                        ; -- End function
	.section	.AMDGPU.csdata,"",@progbits
; Kernel info:
; codeLenInByte = 1452
; NumSgprs: 18
; NumVgprs: 9
; ScratchSize: 0
; MemoryBound: 0
; FloatMode: 240
; IeeeMode: 1
; LDSByteSize: 256 bytes/workgroup (compile time only)
; SGPRBlocks: 2
; VGPRBlocks: 1
; NumSGPRsForWavesPerEU: 18
; NumVGPRsForWavesPerEU: 9
; Occupancy: 16
; WaveLimiterHint : 0
; COMPUTE_PGM_RSRC2:SCRATCH_EN: 0
; COMPUTE_PGM_RSRC2:USER_SGPR: 14
; COMPUTE_PGM_RSRC2:TRAP_HANDLER: 0
; COMPUTE_PGM_RSRC2:TGID_X_EN: 1
; COMPUTE_PGM_RSRC2:TGID_Y_EN: 1
; COMPUTE_PGM_RSRC2:TGID_Z_EN: 0
; COMPUTE_PGM_RSRC2:TIDIG_COMP_CNT: 0
	.section	.text._ZN4vllm35silu_and_mul_per_block_quant_kernelIN3c104HalfENS1_15Float8_e4m3fnuzELb1ELi128EEEvPT0_PfPKT_PKfi,"axG",@progbits,_ZN4vllm35silu_and_mul_per_block_quant_kernelIN3c104HalfENS1_15Float8_e4m3fnuzELb1ELi128EEEvPT0_PfPKT_PKfi,comdat
	.protected	_ZN4vllm35silu_and_mul_per_block_quant_kernelIN3c104HalfENS1_15Float8_e4m3fnuzELb1ELi128EEEvPT0_PfPKT_PKfi ; -- Begin function _ZN4vllm35silu_and_mul_per_block_quant_kernelIN3c104HalfENS1_15Float8_e4m3fnuzELb1ELi128EEEvPT0_PfPKT_PKfi
	.globl	_ZN4vllm35silu_and_mul_per_block_quant_kernelIN3c104HalfENS1_15Float8_e4m3fnuzELb1ELi128EEEvPT0_PfPKT_PKfi
	.p2align	8
	.type	_ZN4vllm35silu_and_mul_per_block_quant_kernelIN3c104HalfENS1_15Float8_e4m3fnuzELb1ELi128EEEvPT0_PfPKT_PKfi,@function
_ZN4vllm35silu_and_mul_per_block_quant_kernelIN3c104HalfENS1_15Float8_e4m3fnuzELb1ELi128EEEvPT0_PfPKT_PKfi: ; @_ZN4vllm35silu_and_mul_per_block_quant_kernelIN3c104HalfENS1_15Float8_e4m3fnuzELb1ELi128EEEvPT0_PfPKT_PKfi
; %bb.0:
	s_clause 0x2
	s_load_b32 s4, s[0:1], 0x20
	s_load_b64 s[8:9], s[0:1], 0x10
	s_load_b32 s3, s[0:1], 0x28
	s_lshl_b32 s6, s15, 7
	v_lshlrev_b32_e32 v1, 1, v0
	s_mov_b32 s2, s15
	s_waitcnt lgkmcnt(0)
	s_mul_i32 s5, s14, s4
	s_delay_alu instid0(SALU_CYCLE_1) | instskip(SKIP_2) | instid1(SALU_CYCLE_1)
	s_lshl_b32 s10, s5, 1
	s_ashr_i32 s5, s4, 31
	s_ashr_i32 s11, s10, 31
	s_lshl_b64 s[10:11], s[10:11], 1
	s_delay_alu instid0(SALU_CYCLE_1) | instskip(SKIP_2) | instid1(SALU_CYCLE_1)
	s_add_u32 s10, s8, s10
	s_addc_u32 s11, s9, s11
	s_ashr_i32 s7, s6, 31
	s_lshl_b64 s[8:9], s[6:7], 1
	s_delay_alu instid0(SALU_CYCLE_1)
	s_add_u32 s8, s10, s8
	s_addc_u32 s9, s11, s9
	s_lshl_b64 s[10:11], s[4:5], 1
	global_load_u16 v2, v1, s[8:9]
	s_add_u32 s8, s8, s10
	s_addc_u32 s9, s9, s11
	s_mov_b32 s5, 0xbfb8aa3b
	s_waitcnt vmcnt(0)
	v_cvt_f32_f16_e32 v3, v2
	s_delay_alu instid0(VALU_DEP_1)
	v_mul_f32_e32 v4, 0xbfb8aa3b, v3
	global_load_u16 v1, v1, s[8:9]
	v_cmp_nlt_f32_e32 vcc_lo, 0x42ce8ed0, v3
	v_fma_mix_f32 v5, v2, s5, -v4 op_sel_hi:[1,0,0]
	v_rndne_f32_e32 v6, v4
	s_mov_b32 s5, 0xb2a5705f
	s_delay_alu instid0(VALU_DEP_2) | instid1(SALU_CYCLE_1)
	v_fma_mix_f32 v2, v2, s5, v5 op_sel_hi:[1,0,0]
	s_delay_alu instid0(VALU_DEP_2) | instskip(SKIP_1) | instid1(VALU_DEP_1)
	v_sub_f32_e32 v4, v4, v6
	s_mov_b32 s5, exec_lo
	v_add_f32_e32 v2, v4, v2
	v_cvt_i32_f32_e32 v4, v6
	s_delay_alu instid0(VALU_DEP_2) | instskip(SKIP_2) | instid1(VALU_DEP_1)
	v_exp_f32_e32 v2, v2
	s_waitcnt_depctr 0xfff
	v_ldexp_f32 v2, v2, v4
	v_cndmask_b32_e32 v2, 0, v2, vcc_lo
	v_cmp_ngt_f32_e32 vcc_lo, 0xc2b17218, v3
	s_delay_alu instid0(VALU_DEP_2) | instskip(NEXT) | instid1(VALU_DEP_1)
	v_cndmask_b32_e32 v2, 0x7f800000, v2, vcc_lo
	v_add_f32_e32 v2, 1.0, v2
	s_delay_alu instid0(VALU_DEP_1) | instskip(SKIP_1) | instid1(VALU_DEP_2)
	v_div_scale_f32 v4, null, v2, v2, 1.0
	v_div_scale_f32 v7, vcc_lo, 1.0, v2, 1.0
	v_rcp_f32_e32 v5, v4
	s_waitcnt_depctr 0xfff
	v_fma_f32 v6, -v4, v5, 1.0
	s_delay_alu instid0(VALU_DEP_1) | instskip(NEXT) | instid1(VALU_DEP_1)
	v_fmac_f32_e32 v5, v6, v5
	v_mul_f32_e32 v6, v7, v5
	s_delay_alu instid0(VALU_DEP_1) | instskip(NEXT) | instid1(VALU_DEP_1)
	v_fma_f32 v8, -v4, v6, v7
	v_fmac_f32_e32 v6, v8, v5
	s_delay_alu instid0(VALU_DEP_1) | instskip(NEXT) | instid1(VALU_DEP_1)
	v_fma_f32 v4, -v4, v6, v7
	v_div_fmas_f32 v4, v4, v5, v6
	s_delay_alu instid0(VALU_DEP_1) | instskip(NEXT) | instid1(VALU_DEP_1)
	v_div_fixup_f32 v2, v4, v2, 1.0
	v_mul_f32_e32 v2, v2, v3
	s_waitcnt vmcnt(0)
	v_cvt_f32_f16_e32 v1, v1
	s_delay_alu instid0(VALU_DEP_1) | instskip(NEXT) | instid1(VALU_DEP_1)
	v_dual_mul_f32 v1, v2, v1 :: v_dual_lshlrev_b32 v2, 2, v0
	v_and_b32_e32 v3, 0x7fffffff, v1
	ds_store_b32 v2, v3
	s_waitcnt lgkmcnt(0)
	s_barrier
	buffer_gl0_inv
	v_cmpx_gt_u32_e32 64, v0
	s_cbranch_execz .LBB16_2
; %bb.1:
	ds_load_2addr_stride64_b32 v[3:4], v2 offset1:1
	s_waitcnt lgkmcnt(0)
	v_dual_max_f32 v4, v4, v4 :: v_dual_max_f32 v3, v3, v3
	s_delay_alu instid0(VALU_DEP_1)
	v_max_f32_e32 v3, v3, v4
	ds_store_b32 v2, v3
.LBB16_2:
	s_or_b32 exec_lo, exec_lo, s5
	s_delay_alu instid0(SALU_CYCLE_1)
	s_mov_b32 s5, exec_lo
	s_waitcnt lgkmcnt(0)
	s_barrier
	buffer_gl0_inv
	v_cmpx_gt_u32_e32 32, v0
	s_cbranch_execz .LBB16_4
; %bb.3:
	ds_load_2addr_b32 v[3:4], v2 offset1:32
	s_waitcnt lgkmcnt(0)
	v_dual_max_f32 v4, v4, v4 :: v_dual_max_f32 v3, v3, v3
	s_delay_alu instid0(VALU_DEP_1)
	v_max_f32_e32 v3, v3, v4
	ds_store_b32 v2, v3
.LBB16_4:
	s_or_b32 exec_lo, exec_lo, s5
	s_delay_alu instid0(SALU_CYCLE_1)
	s_mov_b32 s5, exec_lo
	s_waitcnt lgkmcnt(0)
	s_barrier
	buffer_gl0_inv
	v_cmpx_gt_u32_e32 16, v0
	s_cbranch_execz .LBB16_6
; %bb.5:
	ds_load_2addr_b32 v[3:4], v2 offset1:16
	s_waitcnt lgkmcnt(0)
	v_dual_max_f32 v4, v4, v4 :: v_dual_max_f32 v3, v3, v3
	s_delay_alu instid0(VALU_DEP_1)
	v_max_f32_e32 v3, v3, v4
	ds_store_b32 v2, v3
.LBB16_6:
	;; [unrolled: 16-line block ×5, first 2 shown]
	s_or_b32 exec_lo, exec_lo, s5
	v_cmp_eq_u32_e32 vcc_lo, 0, v0
	s_waitcnt lgkmcnt(0)
	s_barrier
	buffer_gl0_inv
	s_and_saveexec_b32 s5, vcc_lo
	s_cbranch_execz .LBB16_14
; %bb.13:
	v_mov_b32_e32 v3, 0
	ds_load_b32 v3, v3 offset:4
	ds_load_b32 v4, v2
	s_waitcnt lgkmcnt(0)
	v_dual_max_f32 v3, v3, v3 :: v_dual_max_f32 v4, v4, v4
	s_delay_alu instid0(VALU_DEP_1)
	v_max_f32_e32 v3, v4, v3
	ds_store_b32 v2, v3
.LBB16_14:
	s_or_b32 exec_lo, exec_lo, s5
	s_load_b64 s[8:9], s[0:1], 0x0
	s_ashr_i32 s15, s14, 31
	s_waitcnt lgkmcnt(0)
	s_barrier
	buffer_gl0_inv
	s_and_saveexec_b32 s5, vcc_lo
	s_cbranch_execz .LBB16_18
; %bb.15:
	v_mov_b32_e32 v2, 0
	ds_load_b32 v3, v2
	s_clause 0x1
	s_load_b64 s[10:11], s[0:1], 0x18
	s_load_b64 s[0:1], s[0:1], 0x8
	s_waitcnt lgkmcnt(0)
	s_cmp_eq_u64 s[10:11], 0
	v_div_scale_f32 v4, null, 0x43600000, 0x43600000, v3
	s_delay_alu instid0(VALU_DEP_1) | instskip(SKIP_2) | instid1(VALU_DEP_1)
	v_rcp_f32_e32 v5, v4
	s_waitcnt_depctr 0xfff
	v_fma_f32 v6, -v4, v5, 1.0
	v_fmac_f32_e32 v5, v6, v5
	v_div_scale_f32 v6, vcc_lo, v3, 0x43600000, v3
	s_delay_alu instid0(VALU_DEP_1) | instskip(NEXT) | instid1(VALU_DEP_1)
	v_mul_f32_e32 v7, v6, v5
	v_fma_f32 v8, -v4, v7, v6
	s_delay_alu instid0(VALU_DEP_1) | instskip(NEXT) | instid1(VALU_DEP_1)
	v_fmac_f32_e32 v7, v8, v5
	v_fma_f32 v4, -v4, v7, v6
	s_delay_alu instid0(VALU_DEP_1) | instskip(NEXT) | instid1(VALU_DEP_1)
	v_div_fmas_f32 v4, v4, v5, v7
	v_div_fixup_f32 v3, v4, 0x43600000, v3
	s_cbranch_scc1 .LBB16_17
; %bb.16:
	s_load_b32 s10, s[10:11], 0x0
	s_delay_alu instid0(VALU_DEP_1) | instskip(SKIP_2) | instid1(VALU_DEP_1)
	v_max_f32_e32 v3, v3, v3
	s_waitcnt lgkmcnt(0)
	v_max_f32_e64 v4, s10, s10
	v_min_f32_e32 v3, v3, v4
.LBB16_17:
	s_mul_i32 s2, s3, s2
	s_delay_alu instid0(VALU_DEP_1) | instskip(SKIP_1) | instid1(SALU_CYCLE_1)
	v_max_f32_e32 v3, v3, v3
	s_ashr_i32 s3, s2, 31
	s_lshl_b64 s[2:3], s[2:3], 2
	s_delay_alu instid0(VALU_DEP_1) | instskip(SKIP_3) | instid1(SALU_CYCLE_1)
	v_max_f32_e32 v3, 0x37124925, v3
	s_add_u32 s2, s0, s2
	s_addc_u32 s3, s1, s3
	s_lshl_b64 s[0:1], s[14:15], 2
	s_add_u32 s0, s2, s0
	s_addc_u32 s1, s3, s1
	ds_store_b32 v2, v3
	global_store_b32 v2, v3, s[0:1]
.LBB16_18:
	s_or_b32 exec_lo, exec_lo, s5
	v_mov_b32_e32 v2, 0
	s_waitcnt lgkmcnt(0)
	s_waitcnt_vscnt null, 0x0
	s_barrier
	buffer_gl0_inv
	s_mov_b32 s0, 0x43600000
	ds_load_b32 v2, v2
	s_waitcnt lgkmcnt(0)
	v_div_scale_f32 v3, null, v2, v2, v1
	v_div_scale_f32 v6, vcc_lo, v1, v2, v1
	s_delay_alu instid0(VALU_DEP_2) | instskip(SKIP_2) | instid1(VALU_DEP_1)
	v_rcp_f32_e32 v4, v3
	s_waitcnt_depctr 0xfff
	v_fma_f32 v5, -v3, v4, 1.0
	v_fmac_f32_e32 v4, v5, v4
	s_delay_alu instid0(VALU_DEP_1) | instskip(NEXT) | instid1(VALU_DEP_1)
	v_mul_f32_e32 v5, v6, v4
	v_fma_f32 v7, -v3, v5, v6
	s_delay_alu instid0(VALU_DEP_1) | instskip(NEXT) | instid1(VALU_DEP_1)
	v_fmac_f32_e32 v5, v7, v4
	v_fma_f32 v3, -v3, v5, v6
	s_delay_alu instid0(VALU_DEP_1) | instskip(NEXT) | instid1(VALU_DEP_1)
	v_div_fmas_f32 v3, v3, v4, v5
	v_div_fixup_f32 v1, v3, v2, v1
	v_mov_b32_e32 v3, 0x80
	s_delay_alu instid0(VALU_DEP_2) | instskip(SKIP_1) | instid1(VALU_DEP_1)
	v_minmax_f32 v1, v1, s0, 0xc3600000
	s_mov_b32 s0, exec_lo
	v_and_b32_e32 v2, 0x7fffffff, v1
	s_delay_alu instid0(VALU_DEP_1)
	v_cmpx_gt_u32_e32 0x43800000, v2
	s_cbranch_execz .LBB16_24
; %bb.19:
	v_cmp_lt_u32_e32 vcc_lo, 0x3bffffff, v2
	s_mov_b32 s1, 0
                                        ; implicit-def: $vgpr2
	s_and_saveexec_b32 s2, vcc_lo
	s_delay_alu instid0(SALU_CYCLE_1)
	s_xor_b32 s2, exec_lo, s2
	s_cbranch_execnz .LBB16_25
; %bb.20:
	s_or_saveexec_b32 s2, s2
                                        ; implicit-def: $sgpr3
	s_delay_alu instid0(SALU_CYCLE_1)
	s_xor_b32 exec_lo, exec_lo, s2
	s_cbranch_execnz .LBB16_26
.LBB16_21:
	s_or_b32 exec_lo, exec_lo, s2
	v_mov_b32_e32 v3, s3
	s_and_saveexec_b32 s2, s1
.LBB16_22:
	v_lshrrev_b32_e32 v1, 24, v1
	s_delay_alu instid0(VALU_DEP_1)
	v_and_or_b32 v3, 0x80, v1, v2
.LBB16_23:
	s_or_b32 exec_lo, exec_lo, s2
.LBB16_24:
	s_delay_alu instid0(SALU_CYCLE_1) | instskip(SKIP_1) | instid1(SALU_CYCLE_1)
	s_or_b32 exec_lo, exec_lo, s0
	s_mul_i32 s0, s14, s4
	s_ashr_i32 s1, s0, 31
	s_add_u32 s0, s8, s0
	s_addc_u32 s1, s9, s1
	s_add_u32 s0, s0, s6
	s_addc_u32 s1, s1, s7
	v_add_co_u32 v0, s0, s0, v0
	s_delay_alu instid0(VALU_DEP_1)
	v_add_co_ci_u32_e64 v1, null, s1, 0, s0
	global_store_b8 v[0:1], v3, off
	s_nop 0
	s_sendmsg sendmsg(MSG_DEALLOC_VGPRS)
	s_endpgm
.LBB16_25:
	v_bfe_u32 v2, v1, 20, 1
	s_mov_b32 s1, exec_lo
	s_delay_alu instid0(VALU_DEP_1) | instskip(NEXT) | instid1(VALU_DEP_1)
	v_add3_u32 v2, v1, v2, 0x487ffff
	v_lshrrev_b32_e32 v2, 20, v2
	s_or_saveexec_b32 s2, s2
                                        ; implicit-def: $sgpr3
	s_delay_alu instid0(SALU_CYCLE_1)
	s_xor_b32 exec_lo, exec_lo, s2
	s_cbranch_execz .LBB16_21
.LBB16_26:
	v_add_f32_e64 v2, 0x46000000, |v1|
	s_and_not1_b32 s1, s1, exec_lo
	s_mov_b32 s3, 0
	s_delay_alu instid0(VALU_DEP_1) | instskip(NEXT) | instid1(VALU_DEP_1)
	v_and_b32_e32 v2, 0xff, v2
	v_cmp_ne_u32_e32 vcc_lo, 0, v2
	s_and_b32 s5, vcc_lo, exec_lo
	s_delay_alu instid0(SALU_CYCLE_1)
	s_or_b32 s1, s1, s5
	s_or_b32 exec_lo, exec_lo, s2
	v_mov_b32_e32 v3, s3
	s_and_saveexec_b32 s2, s1
	s_cbranch_execnz .LBB16_22
	s_branch .LBB16_23
	.section	.rodata,"a",@progbits
	.p2align	6, 0x0
	.amdhsa_kernel _ZN4vllm35silu_and_mul_per_block_quant_kernelIN3c104HalfENS1_15Float8_e4m3fnuzELb1ELi128EEEvPT0_PfPKT_PKfi
		.amdhsa_group_segment_fixed_size 512
		.amdhsa_private_segment_fixed_size 0
		.amdhsa_kernarg_size 296
		.amdhsa_user_sgpr_count 14
		.amdhsa_user_sgpr_dispatch_ptr 0
		.amdhsa_user_sgpr_queue_ptr 0
		.amdhsa_user_sgpr_kernarg_segment_ptr 1
		.amdhsa_user_sgpr_dispatch_id 0
		.amdhsa_user_sgpr_private_segment_size 0
		.amdhsa_wavefront_size32 1
		.amdhsa_uses_dynamic_stack 0
		.amdhsa_enable_private_segment 0
		.amdhsa_system_sgpr_workgroup_id_x 1
		.amdhsa_system_sgpr_workgroup_id_y 1
		.amdhsa_system_sgpr_workgroup_id_z 0
		.amdhsa_system_sgpr_workgroup_info 0
		.amdhsa_system_vgpr_workitem_id 0
		.amdhsa_next_free_vgpr 9
		.amdhsa_next_free_sgpr 16
		.amdhsa_reserve_vcc 1
		.amdhsa_float_round_mode_32 0
		.amdhsa_float_round_mode_16_64 0
		.amdhsa_float_denorm_mode_32 3
		.amdhsa_float_denorm_mode_16_64 3
		.amdhsa_dx10_clamp 1
		.amdhsa_ieee_mode 1
		.amdhsa_fp16_overflow 0
		.amdhsa_workgroup_processor_mode 1
		.amdhsa_memory_ordered 1
		.amdhsa_forward_progress 0
		.amdhsa_shared_vgpr_count 0
		.amdhsa_exception_fp_ieee_invalid_op 0
		.amdhsa_exception_fp_denorm_src 0
		.amdhsa_exception_fp_ieee_div_zero 0
		.amdhsa_exception_fp_ieee_overflow 0
		.amdhsa_exception_fp_ieee_underflow 0
		.amdhsa_exception_fp_ieee_inexact 0
		.amdhsa_exception_int_div_zero 0
	.end_amdhsa_kernel
	.section	.text._ZN4vllm35silu_and_mul_per_block_quant_kernelIN3c104HalfENS1_15Float8_e4m3fnuzELb1ELi128EEEvPT0_PfPKT_PKfi,"axG",@progbits,_ZN4vllm35silu_and_mul_per_block_quant_kernelIN3c104HalfENS1_15Float8_e4m3fnuzELb1ELi128EEEvPT0_PfPKT_PKfi,comdat
.Lfunc_end16:
	.size	_ZN4vllm35silu_and_mul_per_block_quant_kernelIN3c104HalfENS1_15Float8_e4m3fnuzELb1ELi128EEEvPT0_PfPKT_PKfi, .Lfunc_end16-_ZN4vllm35silu_and_mul_per_block_quant_kernelIN3c104HalfENS1_15Float8_e4m3fnuzELb1ELi128EEEvPT0_PfPKT_PKfi
                                        ; -- End function
	.section	.AMDGPU.csdata,"",@progbits
; Kernel info:
; codeLenInByte = 1648
; NumSgprs: 18
; NumVgprs: 9
; ScratchSize: 0
; MemoryBound: 0
; FloatMode: 240
; IeeeMode: 1
; LDSByteSize: 512 bytes/workgroup (compile time only)
; SGPRBlocks: 2
; VGPRBlocks: 1
; NumSGPRsForWavesPerEU: 18
; NumVGPRsForWavesPerEU: 9
; Occupancy: 16
; WaveLimiterHint : 0
; COMPUTE_PGM_RSRC2:SCRATCH_EN: 0
; COMPUTE_PGM_RSRC2:USER_SGPR: 14
; COMPUTE_PGM_RSRC2:TRAP_HANDLER: 0
; COMPUTE_PGM_RSRC2:TGID_X_EN: 1
; COMPUTE_PGM_RSRC2:TGID_Y_EN: 1
; COMPUTE_PGM_RSRC2:TGID_Z_EN: 0
; COMPUTE_PGM_RSRC2:TIDIG_COMP_CNT: 0
	.section	.text._ZN4vllm35silu_and_mul_per_block_quant_kernelIN3c104HalfENS1_15Float8_e4m3fnuzELb0ELi128EEEvPT0_PfPKT_PKfi,"axG",@progbits,_ZN4vllm35silu_and_mul_per_block_quant_kernelIN3c104HalfENS1_15Float8_e4m3fnuzELb0ELi128EEEvPT0_PfPKT_PKfi,comdat
	.protected	_ZN4vllm35silu_and_mul_per_block_quant_kernelIN3c104HalfENS1_15Float8_e4m3fnuzELb0ELi128EEEvPT0_PfPKT_PKfi ; -- Begin function _ZN4vllm35silu_and_mul_per_block_quant_kernelIN3c104HalfENS1_15Float8_e4m3fnuzELb0ELi128EEEvPT0_PfPKT_PKfi
	.globl	_ZN4vllm35silu_and_mul_per_block_quant_kernelIN3c104HalfENS1_15Float8_e4m3fnuzELb0ELi128EEEvPT0_PfPKT_PKfi
	.p2align	8
	.type	_ZN4vllm35silu_and_mul_per_block_quant_kernelIN3c104HalfENS1_15Float8_e4m3fnuzELb0ELi128EEEvPT0_PfPKT_PKfi,@function
_ZN4vllm35silu_and_mul_per_block_quant_kernelIN3c104HalfENS1_15Float8_e4m3fnuzELb0ELi128EEEvPT0_PfPKT_PKfi: ; @_ZN4vllm35silu_and_mul_per_block_quant_kernelIN3c104HalfENS1_15Float8_e4m3fnuzELb0ELi128EEEvPT0_PfPKT_PKfi
; %bb.0:
	s_clause 0x2
	s_load_b32 s6, s[0:1], 0x20
	s_load_b64 s[8:9], s[0:1], 0x10
	s_load_b32 s5, s[0:1], 0x2c
	s_lshl_b32 s2, s15, 7
	v_lshlrev_b32_e32 v1, 1, v0
	s_mov_b32 s4, s15
	s_waitcnt lgkmcnt(0)
	s_mul_i32 s10, s14, s6
	s_ashr_i32 s7, s6, 31
	s_lshl_b32 s12, s10, 1
	s_delay_alu instid0(SALU_CYCLE_1) | instskip(NEXT) | instid1(SALU_CYCLE_1)
	s_ashr_i32 s13, s12, 31
	s_lshl_b64 s[12:13], s[12:13], 1
	s_delay_alu instid0(SALU_CYCLE_1) | instskip(SKIP_2) | instid1(SALU_CYCLE_1)
	s_add_u32 s11, s8, s12
	s_addc_u32 s12, s9, s13
	s_ashr_i32 s3, s2, 31
	s_lshl_b64 s[8:9], s[2:3], 1
	s_delay_alu instid0(SALU_CYCLE_1)
	s_add_u32 s8, s11, s8
	s_addc_u32 s9, s12, s9
	s_lshl_b64 s[6:7], s[6:7], 1
	global_load_u16 v2, v1, s[8:9]
	s_add_u32 s6, s8, s6
	s_addc_u32 s7, s9, s7
	s_waitcnt vmcnt(0)
	v_cvt_f32_f16_e32 v3, v2
	s_delay_alu instid0(VALU_DEP_1)
	v_mul_f32_e32 v4, 0xbfb8aa3b, v3
	global_load_u16 v1, v1, s[6:7]
	s_mov_b32 s6, 0xbfb8aa3b
	v_cmp_nlt_f32_e32 vcc_lo, 0x42ce8ed0, v3
	v_fma_mix_f32 v5, v2, s6, -v4 op_sel_hi:[1,0,0]
	v_rndne_f32_e32 v6, v4
	s_mov_b32 s6, 0xb2a5705f
	s_delay_alu instid0(VALU_DEP_2) | instid1(SALU_CYCLE_1)
	v_fma_mix_f32 v2, v2, s6, v5 op_sel_hi:[1,0,0]
	s_delay_alu instid0(VALU_DEP_2) | instskip(SKIP_1) | instid1(VALU_DEP_1)
	v_sub_f32_e32 v4, v4, v6
	s_mov_b32 s6, exec_lo
	v_add_f32_e32 v2, v4, v2
	v_cvt_i32_f32_e32 v4, v6
	s_delay_alu instid0(VALU_DEP_2) | instskip(SKIP_2) | instid1(VALU_DEP_1)
	v_exp_f32_e32 v2, v2
	s_waitcnt_depctr 0xfff
	v_ldexp_f32 v2, v2, v4
	v_cndmask_b32_e32 v2, 0, v2, vcc_lo
	v_cmp_ngt_f32_e32 vcc_lo, 0xc2b17218, v3
	s_delay_alu instid0(VALU_DEP_2) | instskip(NEXT) | instid1(VALU_DEP_1)
	v_cndmask_b32_e32 v2, 0x7f800000, v2, vcc_lo
	v_add_f32_e32 v2, 1.0, v2
	s_delay_alu instid0(VALU_DEP_1) | instskip(SKIP_1) | instid1(VALU_DEP_2)
	v_div_scale_f32 v4, null, v2, v2, 1.0
	v_div_scale_f32 v7, vcc_lo, 1.0, v2, 1.0
	v_rcp_f32_e32 v5, v4
	s_waitcnt_depctr 0xfff
	v_fma_f32 v6, -v4, v5, 1.0
	s_delay_alu instid0(VALU_DEP_1) | instskip(NEXT) | instid1(VALU_DEP_1)
	v_fmac_f32_e32 v5, v6, v5
	v_mul_f32_e32 v6, v7, v5
	s_delay_alu instid0(VALU_DEP_1) | instskip(NEXT) | instid1(VALU_DEP_1)
	v_fma_f32 v8, -v4, v6, v7
	v_fmac_f32_e32 v6, v8, v5
	s_delay_alu instid0(VALU_DEP_1) | instskip(NEXT) | instid1(VALU_DEP_1)
	v_fma_f32 v4, -v4, v6, v7
	v_div_fmas_f32 v4, v4, v5, v6
	s_delay_alu instid0(VALU_DEP_1) | instskip(NEXT) | instid1(VALU_DEP_1)
	v_div_fixup_f32 v2, v4, v2, 1.0
	v_mul_f32_e32 v2, v2, v3
	s_waitcnt vmcnt(0)
	v_cvt_f32_f16_e32 v1, v1
	s_delay_alu instid0(VALU_DEP_1) | instskip(NEXT) | instid1(VALU_DEP_1)
	v_dual_mul_f32 v1, v2, v1 :: v_dual_lshlrev_b32 v2, 2, v0
	v_and_b32_e32 v3, 0x7fffffff, v1
	ds_store_b32 v2, v3
	s_waitcnt lgkmcnt(0)
	s_barrier
	buffer_gl0_inv
	v_cmpx_gt_u32_e32 64, v0
	s_cbranch_execz .LBB17_2
; %bb.1:
	ds_load_2addr_stride64_b32 v[3:4], v2 offset1:1
	s_waitcnt lgkmcnt(0)
	v_dual_max_f32 v4, v4, v4 :: v_dual_max_f32 v3, v3, v3
	s_delay_alu instid0(VALU_DEP_1)
	v_max_f32_e32 v3, v3, v4
	ds_store_b32 v2, v3
.LBB17_2:
	s_or_b32 exec_lo, exec_lo, s6
	s_delay_alu instid0(SALU_CYCLE_1)
	s_mov_b32 s6, exec_lo
	s_waitcnt lgkmcnt(0)
	s_barrier
	buffer_gl0_inv
	v_cmpx_gt_u32_e32 32, v0
	s_cbranch_execz .LBB17_4
; %bb.3:
	ds_load_2addr_b32 v[3:4], v2 offset1:32
	s_waitcnt lgkmcnt(0)
	v_dual_max_f32 v4, v4, v4 :: v_dual_max_f32 v3, v3, v3
	s_delay_alu instid0(VALU_DEP_1)
	v_max_f32_e32 v3, v3, v4
	ds_store_b32 v2, v3
.LBB17_4:
	s_or_b32 exec_lo, exec_lo, s6
	s_delay_alu instid0(SALU_CYCLE_1)
	s_mov_b32 s6, exec_lo
	s_waitcnt lgkmcnt(0)
	s_barrier
	buffer_gl0_inv
	v_cmpx_gt_u32_e32 16, v0
	s_cbranch_execz .LBB17_6
; %bb.5:
	ds_load_2addr_b32 v[3:4], v2 offset1:16
	s_waitcnt lgkmcnt(0)
	v_dual_max_f32 v4, v4, v4 :: v_dual_max_f32 v3, v3, v3
	s_delay_alu instid0(VALU_DEP_1)
	v_max_f32_e32 v3, v3, v4
	ds_store_b32 v2, v3
.LBB17_6:
	;; [unrolled: 16-line block ×5, first 2 shown]
	s_or_b32 exec_lo, exec_lo, s6
	v_cmp_eq_u32_e32 vcc_lo, 0, v0
	s_waitcnt lgkmcnt(0)
	s_barrier
	buffer_gl0_inv
	s_and_saveexec_b32 s6, vcc_lo
	s_cbranch_execz .LBB17_14
; %bb.13:
	v_mov_b32_e32 v3, 0
	ds_load_b32 v3, v3 offset:4
	ds_load_b32 v4, v2
	s_waitcnt lgkmcnt(0)
	v_dual_max_f32 v3, v3, v3 :: v_dual_max_f32 v4, v4, v4
	s_delay_alu instid0(VALU_DEP_1)
	v_max_f32_e32 v3, v4, v3
	ds_store_b32 v2, v3
.LBB17_14:
	s_or_b32 exec_lo, exec_lo, s6
	s_load_b64 s[6:7], s[0:1], 0x0
	s_waitcnt lgkmcnt(0)
	s_barrier
	buffer_gl0_inv
	s_and_saveexec_b32 s11, vcc_lo
	s_cbranch_execz .LBB17_18
; %bb.15:
	v_mov_b32_e32 v2, 0
	ds_load_b32 v3, v2
	s_clause 0x1
	s_load_b64 s[8:9], s[0:1], 0x18
	s_load_b64 s[0:1], s[0:1], 0x8
	s_waitcnt lgkmcnt(0)
	s_cmp_eq_u64 s[8:9], 0
	v_div_scale_f32 v4, null, 0x43600000, 0x43600000, v3
	s_delay_alu instid0(VALU_DEP_1) | instskip(SKIP_2) | instid1(VALU_DEP_1)
	v_rcp_f32_e32 v5, v4
	s_waitcnt_depctr 0xfff
	v_fma_f32 v6, -v4, v5, 1.0
	v_fmac_f32_e32 v5, v6, v5
	v_div_scale_f32 v6, vcc_lo, v3, 0x43600000, v3
	s_delay_alu instid0(VALU_DEP_1) | instskip(NEXT) | instid1(VALU_DEP_1)
	v_mul_f32_e32 v7, v6, v5
	v_fma_f32 v8, -v4, v7, v6
	s_delay_alu instid0(VALU_DEP_1) | instskip(NEXT) | instid1(VALU_DEP_1)
	v_fmac_f32_e32 v7, v8, v5
	v_fma_f32 v4, -v4, v7, v6
	s_delay_alu instid0(VALU_DEP_1) | instskip(NEXT) | instid1(VALU_DEP_1)
	v_div_fmas_f32 v4, v4, v5, v7
	v_div_fixup_f32 v3, v4, 0x43600000, v3
	s_cbranch_scc1 .LBB17_17
; %bb.16:
	s_load_b32 s8, s[8:9], 0x0
	s_delay_alu instid0(VALU_DEP_1) | instskip(SKIP_2) | instid1(VALU_DEP_1)
	v_max_f32_e32 v3, v3, v3
	s_waitcnt lgkmcnt(0)
	v_max_f32_e64 v4, s8, s8
	v_min_f32_e32 v3, v3, v4
.LBB17_17:
	s_mul_i32 s8, s5, s14
	s_delay_alu instid0(VALU_DEP_1) | instskip(SKIP_3) | instid1(VALU_DEP_1)
	v_max_f32_e32 v3, v3, v3
	s_ashr_i32 s9, s8, 31
	s_ashr_i32 s5, s4, 31
	s_lshl_b64 s[8:9], s[8:9], 2
	v_max_f32_e32 v3, 0x37124925, v3
	s_add_u32 s8, s0, s8
	s_addc_u32 s9, s1, s9
	s_lshl_b64 s[0:1], s[4:5], 2
	s_delay_alu instid0(SALU_CYCLE_1)
	s_add_u32 s0, s8, s0
	s_addc_u32 s1, s9, s1
	ds_store_b32 v2, v3
	global_store_b32 v2, v3, s[0:1]
.LBB17_18:
	s_or_b32 exec_lo, exec_lo, s11
	v_mov_b32_e32 v2, 0
	s_waitcnt lgkmcnt(0)
	s_waitcnt_vscnt null, 0x0
	s_barrier
	buffer_gl0_inv
	s_mov_b32 s0, 0x43600000
	ds_load_b32 v2, v2
	s_waitcnt lgkmcnt(0)
	v_div_scale_f32 v3, null, v2, v2, v1
	v_div_scale_f32 v6, vcc_lo, v1, v2, v1
	s_delay_alu instid0(VALU_DEP_2) | instskip(SKIP_2) | instid1(VALU_DEP_1)
	v_rcp_f32_e32 v4, v3
	s_waitcnt_depctr 0xfff
	v_fma_f32 v5, -v3, v4, 1.0
	v_fmac_f32_e32 v4, v5, v4
	s_delay_alu instid0(VALU_DEP_1) | instskip(NEXT) | instid1(VALU_DEP_1)
	v_mul_f32_e32 v5, v6, v4
	v_fma_f32 v7, -v3, v5, v6
	s_delay_alu instid0(VALU_DEP_1) | instskip(NEXT) | instid1(VALU_DEP_1)
	v_fmac_f32_e32 v5, v7, v4
	v_fma_f32 v3, -v3, v5, v6
	s_delay_alu instid0(VALU_DEP_1) | instskip(NEXT) | instid1(VALU_DEP_1)
	v_div_fmas_f32 v3, v3, v4, v5
	v_div_fixup_f32 v1, v3, v2, v1
	v_mov_b32_e32 v3, 0x80
	s_delay_alu instid0(VALU_DEP_2) | instskip(SKIP_1) | instid1(VALU_DEP_1)
	v_minmax_f32 v1, v1, s0, 0xc3600000
	s_mov_b32 s0, exec_lo
	v_and_b32_e32 v2, 0x7fffffff, v1
	s_delay_alu instid0(VALU_DEP_1)
	v_cmpx_gt_u32_e32 0x43800000, v2
	s_cbranch_execz .LBB17_24
; %bb.19:
	v_cmp_lt_u32_e32 vcc_lo, 0x3bffffff, v2
	s_mov_b32 s1, 0
                                        ; implicit-def: $vgpr2
	s_and_saveexec_b32 s4, vcc_lo
	s_delay_alu instid0(SALU_CYCLE_1)
	s_xor_b32 s4, exec_lo, s4
	s_cbranch_execnz .LBB17_25
; %bb.20:
	s_or_saveexec_b32 s4, s4
                                        ; implicit-def: $sgpr5
	s_delay_alu instid0(SALU_CYCLE_1)
	s_xor_b32 exec_lo, exec_lo, s4
	s_cbranch_execnz .LBB17_26
.LBB17_21:
	s_or_b32 exec_lo, exec_lo, s4
	v_mov_b32_e32 v3, s5
	s_and_saveexec_b32 s4, s1
.LBB17_22:
	v_lshrrev_b32_e32 v1, 24, v1
	s_delay_alu instid0(VALU_DEP_1)
	v_and_or_b32 v3, 0x80, v1, v2
.LBB17_23:
	s_or_b32 exec_lo, exec_lo, s4
.LBB17_24:
	s_delay_alu instid0(SALU_CYCLE_1)
	s_or_b32 exec_lo, exec_lo, s0
	s_ashr_i32 s0, s10, 31
	s_add_u32 s1, s6, s10
	s_addc_u32 s0, s7, s0
	s_add_u32 s1, s1, s2
	s_addc_u32 s0, s0, s3
	v_add_co_u32 v0, s1, s1, v0
	s_delay_alu instid0(VALU_DEP_1)
	v_add_co_ci_u32_e64 v1, null, s0, 0, s1
	global_store_b8 v[0:1], v3, off
	s_nop 0
	s_sendmsg sendmsg(MSG_DEALLOC_VGPRS)
	s_endpgm
.LBB17_25:
	v_bfe_u32 v2, v1, 20, 1
	s_mov_b32 s1, exec_lo
	s_delay_alu instid0(VALU_DEP_1) | instskip(NEXT) | instid1(VALU_DEP_1)
	v_add3_u32 v2, v1, v2, 0x487ffff
	v_lshrrev_b32_e32 v2, 20, v2
	s_or_saveexec_b32 s4, s4
                                        ; implicit-def: $sgpr5
	s_delay_alu instid0(SALU_CYCLE_1)
	s_xor_b32 exec_lo, exec_lo, s4
	s_cbranch_execz .LBB17_21
.LBB17_26:
	v_add_f32_e64 v2, 0x46000000, |v1|
	s_and_not1_b32 s1, s1, exec_lo
	s_mov_b32 s5, 0
	s_delay_alu instid0(VALU_DEP_1) | instskip(NEXT) | instid1(VALU_DEP_1)
	v_and_b32_e32 v2, 0xff, v2
	v_cmp_ne_u32_e32 vcc_lo, 0, v2
	s_and_b32 s8, vcc_lo, exec_lo
	s_delay_alu instid0(SALU_CYCLE_1)
	s_or_b32 s1, s1, s8
	s_or_b32 exec_lo, exec_lo, s4
	v_mov_b32_e32 v3, s5
	s_and_saveexec_b32 s4, s1
	s_cbranch_execnz .LBB17_22
	s_branch .LBB17_23
	.section	.rodata,"a",@progbits
	.p2align	6, 0x0
	.amdhsa_kernel _ZN4vllm35silu_and_mul_per_block_quant_kernelIN3c104HalfENS1_15Float8_e4m3fnuzELb0ELi128EEEvPT0_PfPKT_PKfi
		.amdhsa_group_segment_fixed_size 512
		.amdhsa_private_segment_fixed_size 0
		.amdhsa_kernarg_size 296
		.amdhsa_user_sgpr_count 14
		.amdhsa_user_sgpr_dispatch_ptr 0
		.amdhsa_user_sgpr_queue_ptr 0
		.amdhsa_user_sgpr_kernarg_segment_ptr 1
		.amdhsa_user_sgpr_dispatch_id 0
		.amdhsa_user_sgpr_private_segment_size 0
		.amdhsa_wavefront_size32 1
		.amdhsa_uses_dynamic_stack 0
		.amdhsa_enable_private_segment 0
		.amdhsa_system_sgpr_workgroup_id_x 1
		.amdhsa_system_sgpr_workgroup_id_y 1
		.amdhsa_system_sgpr_workgroup_id_z 0
		.amdhsa_system_sgpr_workgroup_info 0
		.amdhsa_system_vgpr_workitem_id 0
		.amdhsa_next_free_vgpr 9
		.amdhsa_next_free_sgpr 16
		.amdhsa_reserve_vcc 1
		.amdhsa_float_round_mode_32 0
		.amdhsa_float_round_mode_16_64 0
		.amdhsa_float_denorm_mode_32 3
		.amdhsa_float_denorm_mode_16_64 3
		.amdhsa_dx10_clamp 1
		.amdhsa_ieee_mode 1
		.amdhsa_fp16_overflow 0
		.amdhsa_workgroup_processor_mode 1
		.amdhsa_memory_ordered 1
		.amdhsa_forward_progress 0
		.amdhsa_shared_vgpr_count 0
		.amdhsa_exception_fp_ieee_invalid_op 0
		.amdhsa_exception_fp_denorm_src 0
		.amdhsa_exception_fp_ieee_div_zero 0
		.amdhsa_exception_fp_ieee_overflow 0
		.amdhsa_exception_fp_ieee_underflow 0
		.amdhsa_exception_fp_ieee_inexact 0
		.amdhsa_exception_int_div_zero 0
	.end_amdhsa_kernel
	.section	.text._ZN4vllm35silu_and_mul_per_block_quant_kernelIN3c104HalfENS1_15Float8_e4m3fnuzELb0ELi128EEEvPT0_PfPKT_PKfi,"axG",@progbits,_ZN4vllm35silu_and_mul_per_block_quant_kernelIN3c104HalfENS1_15Float8_e4m3fnuzELb0ELi128EEEvPT0_PfPKT_PKfi,comdat
.Lfunc_end17:
	.size	_ZN4vllm35silu_and_mul_per_block_quant_kernelIN3c104HalfENS1_15Float8_e4m3fnuzELb0ELi128EEEvPT0_PfPKT_PKfi, .Lfunc_end17-_ZN4vllm35silu_and_mul_per_block_quant_kernelIN3c104HalfENS1_15Float8_e4m3fnuzELb0ELi128EEEvPT0_PfPKT_PKfi
                                        ; -- End function
	.section	.AMDGPU.csdata,"",@progbits
; Kernel info:
; codeLenInByte = 1644
; NumSgprs: 18
; NumVgprs: 9
; ScratchSize: 0
; MemoryBound: 0
; FloatMode: 240
; IeeeMode: 1
; LDSByteSize: 512 bytes/workgroup (compile time only)
; SGPRBlocks: 2
; VGPRBlocks: 1
; NumSGPRsForWavesPerEU: 18
; NumVGPRsForWavesPerEU: 9
; Occupancy: 16
; WaveLimiterHint : 0
; COMPUTE_PGM_RSRC2:SCRATCH_EN: 0
; COMPUTE_PGM_RSRC2:USER_SGPR: 14
; COMPUTE_PGM_RSRC2:TRAP_HANDLER: 0
; COMPUTE_PGM_RSRC2:TGID_X_EN: 1
; COMPUTE_PGM_RSRC2:TGID_Y_EN: 1
; COMPUTE_PGM_RSRC2:TGID_Z_EN: 0
; COMPUTE_PGM_RSRC2:TIDIG_COMP_CNT: 0
	.section	.text._ZN4vllm35silu_and_mul_per_block_quant_kernelIN3c104HalfENS1_15Float8_e4m3fnuzELb1ELi64EEEvPT0_PfPKT_PKfi,"axG",@progbits,_ZN4vllm35silu_and_mul_per_block_quant_kernelIN3c104HalfENS1_15Float8_e4m3fnuzELb1ELi64EEEvPT0_PfPKT_PKfi,comdat
	.protected	_ZN4vllm35silu_and_mul_per_block_quant_kernelIN3c104HalfENS1_15Float8_e4m3fnuzELb1ELi64EEEvPT0_PfPKT_PKfi ; -- Begin function _ZN4vllm35silu_and_mul_per_block_quant_kernelIN3c104HalfENS1_15Float8_e4m3fnuzELb1ELi64EEEvPT0_PfPKT_PKfi
	.globl	_ZN4vllm35silu_and_mul_per_block_quant_kernelIN3c104HalfENS1_15Float8_e4m3fnuzELb1ELi64EEEvPT0_PfPKT_PKfi
	.p2align	8
	.type	_ZN4vllm35silu_and_mul_per_block_quant_kernelIN3c104HalfENS1_15Float8_e4m3fnuzELb1ELi64EEEvPT0_PfPKT_PKfi,@function
_ZN4vllm35silu_and_mul_per_block_quant_kernelIN3c104HalfENS1_15Float8_e4m3fnuzELb1ELi64EEEvPT0_PfPKT_PKfi: ; @_ZN4vllm35silu_and_mul_per_block_quant_kernelIN3c104HalfENS1_15Float8_e4m3fnuzELb1ELi64EEEvPT0_PfPKT_PKfi
; %bb.0:
	s_clause 0x2
	s_load_b32 s4, s[0:1], 0x20
	s_load_b64 s[8:9], s[0:1], 0x10
	s_load_b32 s3, s[0:1], 0x28
	s_lshl_b32 s6, s15, 6
	v_lshlrev_b32_e32 v1, 1, v0
	s_mov_b32 s2, s15
	s_waitcnt lgkmcnt(0)
	s_mul_i32 s5, s14, s4
	s_delay_alu instid0(SALU_CYCLE_1) | instskip(SKIP_2) | instid1(SALU_CYCLE_1)
	s_lshl_b32 s10, s5, 1
	s_ashr_i32 s5, s4, 31
	s_ashr_i32 s11, s10, 31
	s_lshl_b64 s[10:11], s[10:11], 1
	s_delay_alu instid0(SALU_CYCLE_1) | instskip(SKIP_2) | instid1(SALU_CYCLE_1)
	s_add_u32 s10, s8, s10
	s_addc_u32 s11, s9, s11
	s_ashr_i32 s7, s6, 31
	s_lshl_b64 s[8:9], s[6:7], 1
	s_delay_alu instid0(SALU_CYCLE_1)
	s_add_u32 s8, s10, s8
	s_addc_u32 s9, s11, s9
	s_lshl_b64 s[10:11], s[4:5], 1
	global_load_u16 v2, v1, s[8:9]
	s_add_u32 s8, s8, s10
	s_addc_u32 s9, s9, s11
	s_mov_b32 s5, 0xbfb8aa3b
	s_waitcnt vmcnt(0)
	v_cvt_f32_f16_e32 v3, v2
	s_delay_alu instid0(VALU_DEP_1)
	v_mul_f32_e32 v4, 0xbfb8aa3b, v3
	global_load_u16 v1, v1, s[8:9]
	v_cmp_nlt_f32_e32 vcc_lo, 0x42ce8ed0, v3
	v_fma_mix_f32 v5, v2, s5, -v4 op_sel_hi:[1,0,0]
	v_rndne_f32_e32 v6, v4
	s_mov_b32 s5, 0xb2a5705f
	s_delay_alu instid0(VALU_DEP_2) | instid1(SALU_CYCLE_1)
	v_fma_mix_f32 v2, v2, s5, v5 op_sel_hi:[1,0,0]
	s_delay_alu instid0(VALU_DEP_2) | instskip(SKIP_1) | instid1(VALU_DEP_1)
	v_sub_f32_e32 v4, v4, v6
	s_mov_b32 s5, exec_lo
	v_add_f32_e32 v2, v4, v2
	v_cvt_i32_f32_e32 v4, v6
	s_delay_alu instid0(VALU_DEP_2) | instskip(SKIP_2) | instid1(VALU_DEP_1)
	v_exp_f32_e32 v2, v2
	s_waitcnt_depctr 0xfff
	v_ldexp_f32 v2, v2, v4
	v_cndmask_b32_e32 v2, 0, v2, vcc_lo
	v_cmp_ngt_f32_e32 vcc_lo, 0xc2b17218, v3
	s_delay_alu instid0(VALU_DEP_2) | instskip(NEXT) | instid1(VALU_DEP_1)
	v_cndmask_b32_e32 v2, 0x7f800000, v2, vcc_lo
	v_add_f32_e32 v2, 1.0, v2
	s_delay_alu instid0(VALU_DEP_1) | instskip(SKIP_1) | instid1(VALU_DEP_2)
	v_div_scale_f32 v4, null, v2, v2, 1.0
	v_div_scale_f32 v7, vcc_lo, 1.0, v2, 1.0
	v_rcp_f32_e32 v5, v4
	s_waitcnt_depctr 0xfff
	v_fma_f32 v6, -v4, v5, 1.0
	s_delay_alu instid0(VALU_DEP_1) | instskip(NEXT) | instid1(VALU_DEP_1)
	v_fmac_f32_e32 v5, v6, v5
	v_mul_f32_e32 v6, v7, v5
	s_delay_alu instid0(VALU_DEP_1) | instskip(NEXT) | instid1(VALU_DEP_1)
	v_fma_f32 v8, -v4, v6, v7
	v_fmac_f32_e32 v6, v8, v5
	s_delay_alu instid0(VALU_DEP_1) | instskip(NEXT) | instid1(VALU_DEP_1)
	v_fma_f32 v4, -v4, v6, v7
	v_div_fmas_f32 v4, v4, v5, v6
	s_delay_alu instid0(VALU_DEP_1) | instskip(NEXT) | instid1(VALU_DEP_1)
	v_div_fixup_f32 v2, v4, v2, 1.0
	v_mul_f32_e32 v2, v2, v3
	s_waitcnt vmcnt(0)
	v_cvt_f32_f16_e32 v1, v1
	s_delay_alu instid0(VALU_DEP_1) | instskip(NEXT) | instid1(VALU_DEP_1)
	v_dual_mul_f32 v1, v2, v1 :: v_dual_lshlrev_b32 v2, 2, v0
	v_and_b32_e32 v3, 0x7fffffff, v1
	ds_store_b32 v2, v3
	s_waitcnt lgkmcnt(0)
	s_barrier
	buffer_gl0_inv
	v_cmpx_gt_u32_e32 32, v0
	s_cbranch_execz .LBB18_2
; %bb.1:
	ds_load_2addr_b32 v[3:4], v2 offset1:32
	s_waitcnt lgkmcnt(0)
	v_dual_max_f32 v4, v4, v4 :: v_dual_max_f32 v3, v3, v3
	s_delay_alu instid0(VALU_DEP_1)
	v_max_f32_e32 v3, v3, v4
	ds_store_b32 v2, v3
.LBB18_2:
	s_or_b32 exec_lo, exec_lo, s5
	s_delay_alu instid0(SALU_CYCLE_1)
	s_mov_b32 s5, exec_lo
	s_waitcnt lgkmcnt(0)
	s_barrier
	buffer_gl0_inv
	v_cmpx_gt_u32_e32 16, v0
	s_cbranch_execz .LBB18_4
; %bb.3:
	ds_load_2addr_b32 v[3:4], v2 offset1:16
	s_waitcnt lgkmcnt(0)
	v_dual_max_f32 v4, v4, v4 :: v_dual_max_f32 v3, v3, v3
	s_delay_alu instid0(VALU_DEP_1)
	v_max_f32_e32 v3, v3, v4
	ds_store_b32 v2, v3
.LBB18_4:
	s_or_b32 exec_lo, exec_lo, s5
	s_delay_alu instid0(SALU_CYCLE_1)
	s_mov_b32 s5, exec_lo
	;; [unrolled: 16-line block ×4, first 2 shown]
	s_waitcnt lgkmcnt(0)
	s_barrier
	buffer_gl0_inv
	v_cmpx_gt_u32_e32 2, v0
	s_cbranch_execz .LBB18_10
; %bb.9:
	ds_load_2addr_b32 v[3:4], v2 offset1:2
	s_waitcnt lgkmcnt(0)
	v_dual_max_f32 v4, v4, v4 :: v_dual_max_f32 v3, v3, v3
	s_delay_alu instid0(VALU_DEP_1)
	v_max_f32_e32 v3, v3, v4
	ds_store_b32 v2, v3
.LBB18_10:
	s_or_b32 exec_lo, exec_lo, s5
	v_cmp_eq_u32_e32 vcc_lo, 0, v0
	s_waitcnt lgkmcnt(0)
	s_barrier
	buffer_gl0_inv
	s_and_saveexec_b32 s5, vcc_lo
	s_cbranch_execz .LBB18_12
; %bb.11:
	v_mov_b32_e32 v3, 0
	ds_load_b32 v3, v3 offset:4
	ds_load_b32 v4, v2
	s_waitcnt lgkmcnt(0)
	v_dual_max_f32 v3, v3, v3 :: v_dual_max_f32 v4, v4, v4
	s_delay_alu instid0(VALU_DEP_1)
	v_max_f32_e32 v3, v4, v3
	ds_store_b32 v2, v3
.LBB18_12:
	s_or_b32 exec_lo, exec_lo, s5
	s_load_b64 s[8:9], s[0:1], 0x0
	s_ashr_i32 s15, s14, 31
	s_waitcnt lgkmcnt(0)
	s_barrier
	buffer_gl0_inv
	s_and_saveexec_b32 s5, vcc_lo
	s_cbranch_execz .LBB18_16
; %bb.13:
	v_mov_b32_e32 v2, 0
	ds_load_b32 v3, v2
	s_clause 0x1
	s_load_b64 s[10:11], s[0:1], 0x18
	s_load_b64 s[0:1], s[0:1], 0x8
	s_waitcnt lgkmcnt(0)
	s_cmp_eq_u64 s[10:11], 0
	v_div_scale_f32 v4, null, 0x43600000, 0x43600000, v3
	s_delay_alu instid0(VALU_DEP_1) | instskip(SKIP_2) | instid1(VALU_DEP_1)
	v_rcp_f32_e32 v5, v4
	s_waitcnt_depctr 0xfff
	v_fma_f32 v6, -v4, v5, 1.0
	v_fmac_f32_e32 v5, v6, v5
	v_div_scale_f32 v6, vcc_lo, v3, 0x43600000, v3
	s_delay_alu instid0(VALU_DEP_1) | instskip(NEXT) | instid1(VALU_DEP_1)
	v_mul_f32_e32 v7, v6, v5
	v_fma_f32 v8, -v4, v7, v6
	s_delay_alu instid0(VALU_DEP_1) | instskip(NEXT) | instid1(VALU_DEP_1)
	v_fmac_f32_e32 v7, v8, v5
	v_fma_f32 v4, -v4, v7, v6
	s_delay_alu instid0(VALU_DEP_1) | instskip(NEXT) | instid1(VALU_DEP_1)
	v_div_fmas_f32 v4, v4, v5, v7
	v_div_fixup_f32 v3, v4, 0x43600000, v3
	s_cbranch_scc1 .LBB18_15
; %bb.14:
	s_load_b32 s10, s[10:11], 0x0
	s_delay_alu instid0(VALU_DEP_1) | instskip(SKIP_2) | instid1(VALU_DEP_1)
	v_max_f32_e32 v3, v3, v3
	s_waitcnt lgkmcnt(0)
	v_max_f32_e64 v4, s10, s10
	v_min_f32_e32 v3, v3, v4
.LBB18_15:
	s_mul_i32 s2, s3, s2
	s_delay_alu instid0(VALU_DEP_1) | instskip(SKIP_1) | instid1(SALU_CYCLE_1)
	v_max_f32_e32 v3, v3, v3
	s_ashr_i32 s3, s2, 31
	s_lshl_b64 s[2:3], s[2:3], 2
	s_delay_alu instid0(VALU_DEP_1) | instskip(SKIP_3) | instid1(SALU_CYCLE_1)
	v_max_f32_e32 v3, 0x37124925, v3
	s_add_u32 s2, s0, s2
	s_addc_u32 s3, s1, s3
	s_lshl_b64 s[0:1], s[14:15], 2
	s_add_u32 s0, s2, s0
	s_addc_u32 s1, s3, s1
	ds_store_b32 v2, v3
	global_store_b32 v2, v3, s[0:1]
.LBB18_16:
	s_or_b32 exec_lo, exec_lo, s5
	v_mov_b32_e32 v2, 0
	s_waitcnt lgkmcnt(0)
	s_waitcnt_vscnt null, 0x0
	s_barrier
	buffer_gl0_inv
	s_mov_b32 s0, 0x43600000
	ds_load_b32 v2, v2
	s_waitcnt lgkmcnt(0)
	v_div_scale_f32 v3, null, v2, v2, v1
	v_div_scale_f32 v6, vcc_lo, v1, v2, v1
	s_delay_alu instid0(VALU_DEP_2) | instskip(SKIP_2) | instid1(VALU_DEP_1)
	v_rcp_f32_e32 v4, v3
	s_waitcnt_depctr 0xfff
	v_fma_f32 v5, -v3, v4, 1.0
	v_fmac_f32_e32 v4, v5, v4
	s_delay_alu instid0(VALU_DEP_1) | instskip(NEXT) | instid1(VALU_DEP_1)
	v_mul_f32_e32 v5, v6, v4
	v_fma_f32 v7, -v3, v5, v6
	s_delay_alu instid0(VALU_DEP_1) | instskip(NEXT) | instid1(VALU_DEP_1)
	v_fmac_f32_e32 v5, v7, v4
	v_fma_f32 v3, -v3, v5, v6
	s_delay_alu instid0(VALU_DEP_1) | instskip(NEXT) | instid1(VALU_DEP_1)
	v_div_fmas_f32 v3, v3, v4, v5
	v_div_fixup_f32 v1, v3, v2, v1
	v_mov_b32_e32 v3, 0x80
	s_delay_alu instid0(VALU_DEP_2) | instskip(SKIP_1) | instid1(VALU_DEP_1)
	v_minmax_f32 v1, v1, s0, 0xc3600000
	s_mov_b32 s0, exec_lo
	v_and_b32_e32 v2, 0x7fffffff, v1
	s_delay_alu instid0(VALU_DEP_1)
	v_cmpx_gt_u32_e32 0x43800000, v2
	s_cbranch_execz .LBB18_22
; %bb.17:
	v_cmp_lt_u32_e32 vcc_lo, 0x3bffffff, v2
	s_mov_b32 s1, 0
                                        ; implicit-def: $vgpr2
	s_and_saveexec_b32 s2, vcc_lo
	s_delay_alu instid0(SALU_CYCLE_1)
	s_xor_b32 s2, exec_lo, s2
	s_cbranch_execnz .LBB18_23
; %bb.18:
	s_or_saveexec_b32 s2, s2
                                        ; implicit-def: $sgpr3
	s_delay_alu instid0(SALU_CYCLE_1)
	s_xor_b32 exec_lo, exec_lo, s2
	s_cbranch_execnz .LBB18_24
.LBB18_19:
	s_or_b32 exec_lo, exec_lo, s2
	v_mov_b32_e32 v3, s3
	s_and_saveexec_b32 s2, s1
.LBB18_20:
	v_lshrrev_b32_e32 v1, 24, v1
	s_delay_alu instid0(VALU_DEP_1)
	v_and_or_b32 v3, 0x80, v1, v2
.LBB18_21:
	s_or_b32 exec_lo, exec_lo, s2
.LBB18_22:
	s_delay_alu instid0(SALU_CYCLE_1) | instskip(SKIP_1) | instid1(SALU_CYCLE_1)
	s_or_b32 exec_lo, exec_lo, s0
	s_mul_i32 s0, s14, s4
	s_ashr_i32 s1, s0, 31
	s_add_u32 s0, s8, s0
	s_addc_u32 s1, s9, s1
	s_add_u32 s0, s0, s6
	s_addc_u32 s1, s1, s7
	v_add_co_u32 v0, s0, s0, v0
	s_delay_alu instid0(VALU_DEP_1)
	v_add_co_ci_u32_e64 v1, null, s1, 0, s0
	global_store_b8 v[0:1], v3, off
	s_nop 0
	s_sendmsg sendmsg(MSG_DEALLOC_VGPRS)
	s_endpgm
.LBB18_23:
	v_bfe_u32 v2, v1, 20, 1
	s_mov_b32 s1, exec_lo
	s_delay_alu instid0(VALU_DEP_1) | instskip(NEXT) | instid1(VALU_DEP_1)
	v_add3_u32 v2, v1, v2, 0x487ffff
	v_lshrrev_b32_e32 v2, 20, v2
	s_or_saveexec_b32 s2, s2
                                        ; implicit-def: $sgpr3
	s_delay_alu instid0(SALU_CYCLE_1)
	s_xor_b32 exec_lo, exec_lo, s2
	s_cbranch_execz .LBB18_19
.LBB18_24:
	v_add_f32_e64 v2, 0x46000000, |v1|
	s_and_not1_b32 s1, s1, exec_lo
	s_mov_b32 s3, 0
	s_delay_alu instid0(VALU_DEP_1) | instskip(NEXT) | instid1(VALU_DEP_1)
	v_and_b32_e32 v2, 0xff, v2
	v_cmp_ne_u32_e32 vcc_lo, 0, v2
	s_and_b32 s5, vcc_lo, exec_lo
	s_delay_alu instid0(SALU_CYCLE_1)
	s_or_b32 s1, s1, s5
	s_or_b32 exec_lo, exec_lo, s2
	v_mov_b32_e32 v3, s3
	s_and_saveexec_b32 s2, s1
	s_cbranch_execnz .LBB18_20
	s_branch .LBB18_21
	.section	.rodata,"a",@progbits
	.p2align	6, 0x0
	.amdhsa_kernel _ZN4vllm35silu_and_mul_per_block_quant_kernelIN3c104HalfENS1_15Float8_e4m3fnuzELb1ELi64EEEvPT0_PfPKT_PKfi
		.amdhsa_group_segment_fixed_size 256
		.amdhsa_private_segment_fixed_size 0
		.amdhsa_kernarg_size 296
		.amdhsa_user_sgpr_count 14
		.amdhsa_user_sgpr_dispatch_ptr 0
		.amdhsa_user_sgpr_queue_ptr 0
		.amdhsa_user_sgpr_kernarg_segment_ptr 1
		.amdhsa_user_sgpr_dispatch_id 0
		.amdhsa_user_sgpr_private_segment_size 0
		.amdhsa_wavefront_size32 1
		.amdhsa_uses_dynamic_stack 0
		.amdhsa_enable_private_segment 0
		.amdhsa_system_sgpr_workgroup_id_x 1
		.amdhsa_system_sgpr_workgroup_id_y 1
		.amdhsa_system_sgpr_workgroup_id_z 0
		.amdhsa_system_sgpr_workgroup_info 0
		.amdhsa_system_vgpr_workitem_id 0
		.amdhsa_next_free_vgpr 9
		.amdhsa_next_free_sgpr 16
		.amdhsa_reserve_vcc 1
		.amdhsa_float_round_mode_32 0
		.amdhsa_float_round_mode_16_64 0
		.amdhsa_float_denorm_mode_32 3
		.amdhsa_float_denorm_mode_16_64 3
		.amdhsa_dx10_clamp 1
		.amdhsa_ieee_mode 1
		.amdhsa_fp16_overflow 0
		.amdhsa_workgroup_processor_mode 1
		.amdhsa_memory_ordered 1
		.amdhsa_forward_progress 0
		.amdhsa_shared_vgpr_count 0
		.amdhsa_exception_fp_ieee_invalid_op 0
		.amdhsa_exception_fp_denorm_src 0
		.amdhsa_exception_fp_ieee_div_zero 0
		.amdhsa_exception_fp_ieee_overflow 0
		.amdhsa_exception_fp_ieee_underflow 0
		.amdhsa_exception_fp_ieee_inexact 0
		.amdhsa_exception_int_div_zero 0
	.end_amdhsa_kernel
	.section	.text._ZN4vllm35silu_and_mul_per_block_quant_kernelIN3c104HalfENS1_15Float8_e4m3fnuzELb1ELi64EEEvPT0_PfPKT_PKfi,"axG",@progbits,_ZN4vllm35silu_and_mul_per_block_quant_kernelIN3c104HalfENS1_15Float8_e4m3fnuzELb1ELi64EEEvPT0_PfPKT_PKfi,comdat
.Lfunc_end18:
	.size	_ZN4vllm35silu_and_mul_per_block_quant_kernelIN3c104HalfENS1_15Float8_e4m3fnuzELb1ELi64EEEvPT0_PfPKT_PKfi, .Lfunc_end18-_ZN4vllm35silu_and_mul_per_block_quant_kernelIN3c104HalfENS1_15Float8_e4m3fnuzELb1ELi64EEEvPT0_PfPKT_PKfi
                                        ; -- End function
	.section	.AMDGPU.csdata,"",@progbits
; Kernel info:
; codeLenInByte = 1576
; NumSgprs: 18
; NumVgprs: 9
; ScratchSize: 0
; MemoryBound: 0
; FloatMode: 240
; IeeeMode: 1
; LDSByteSize: 256 bytes/workgroup (compile time only)
; SGPRBlocks: 2
; VGPRBlocks: 1
; NumSGPRsForWavesPerEU: 18
; NumVGPRsForWavesPerEU: 9
; Occupancy: 16
; WaveLimiterHint : 0
; COMPUTE_PGM_RSRC2:SCRATCH_EN: 0
; COMPUTE_PGM_RSRC2:USER_SGPR: 14
; COMPUTE_PGM_RSRC2:TRAP_HANDLER: 0
; COMPUTE_PGM_RSRC2:TGID_X_EN: 1
; COMPUTE_PGM_RSRC2:TGID_Y_EN: 1
; COMPUTE_PGM_RSRC2:TGID_Z_EN: 0
; COMPUTE_PGM_RSRC2:TIDIG_COMP_CNT: 0
	.section	.text._ZN4vllm35silu_and_mul_per_block_quant_kernelIN3c104HalfENS1_15Float8_e4m3fnuzELb0ELi64EEEvPT0_PfPKT_PKfi,"axG",@progbits,_ZN4vllm35silu_and_mul_per_block_quant_kernelIN3c104HalfENS1_15Float8_e4m3fnuzELb0ELi64EEEvPT0_PfPKT_PKfi,comdat
	.protected	_ZN4vllm35silu_and_mul_per_block_quant_kernelIN3c104HalfENS1_15Float8_e4m3fnuzELb0ELi64EEEvPT0_PfPKT_PKfi ; -- Begin function _ZN4vllm35silu_and_mul_per_block_quant_kernelIN3c104HalfENS1_15Float8_e4m3fnuzELb0ELi64EEEvPT0_PfPKT_PKfi
	.globl	_ZN4vllm35silu_and_mul_per_block_quant_kernelIN3c104HalfENS1_15Float8_e4m3fnuzELb0ELi64EEEvPT0_PfPKT_PKfi
	.p2align	8
	.type	_ZN4vllm35silu_and_mul_per_block_quant_kernelIN3c104HalfENS1_15Float8_e4m3fnuzELb0ELi64EEEvPT0_PfPKT_PKfi,@function
_ZN4vllm35silu_and_mul_per_block_quant_kernelIN3c104HalfENS1_15Float8_e4m3fnuzELb0ELi64EEEvPT0_PfPKT_PKfi: ; @_ZN4vllm35silu_and_mul_per_block_quant_kernelIN3c104HalfENS1_15Float8_e4m3fnuzELb0ELi64EEEvPT0_PfPKT_PKfi
; %bb.0:
	s_clause 0x2
	s_load_b32 s6, s[0:1], 0x20
	s_load_b64 s[8:9], s[0:1], 0x10
	s_load_b32 s5, s[0:1], 0x2c
	s_lshl_b32 s2, s15, 6
	v_lshlrev_b32_e32 v1, 1, v0
	s_mov_b32 s4, s15
	s_waitcnt lgkmcnt(0)
	s_mul_i32 s10, s14, s6
	s_ashr_i32 s7, s6, 31
	s_lshl_b32 s12, s10, 1
	s_delay_alu instid0(SALU_CYCLE_1) | instskip(NEXT) | instid1(SALU_CYCLE_1)
	s_ashr_i32 s13, s12, 31
	s_lshl_b64 s[12:13], s[12:13], 1
	s_delay_alu instid0(SALU_CYCLE_1) | instskip(SKIP_2) | instid1(SALU_CYCLE_1)
	s_add_u32 s11, s8, s12
	s_addc_u32 s12, s9, s13
	s_ashr_i32 s3, s2, 31
	s_lshl_b64 s[8:9], s[2:3], 1
	s_delay_alu instid0(SALU_CYCLE_1)
	s_add_u32 s8, s11, s8
	s_addc_u32 s9, s12, s9
	s_lshl_b64 s[6:7], s[6:7], 1
	global_load_u16 v2, v1, s[8:9]
	s_add_u32 s6, s8, s6
	s_addc_u32 s7, s9, s7
	s_waitcnt vmcnt(0)
	v_cvt_f32_f16_e32 v3, v2
	s_delay_alu instid0(VALU_DEP_1)
	v_mul_f32_e32 v4, 0xbfb8aa3b, v3
	global_load_u16 v1, v1, s[6:7]
	s_mov_b32 s6, 0xbfb8aa3b
	v_cmp_nlt_f32_e32 vcc_lo, 0x42ce8ed0, v3
	v_fma_mix_f32 v5, v2, s6, -v4 op_sel_hi:[1,0,0]
	v_rndne_f32_e32 v6, v4
	s_mov_b32 s6, 0xb2a5705f
	s_delay_alu instid0(VALU_DEP_2) | instid1(SALU_CYCLE_1)
	v_fma_mix_f32 v2, v2, s6, v5 op_sel_hi:[1,0,0]
	s_delay_alu instid0(VALU_DEP_2) | instskip(SKIP_1) | instid1(VALU_DEP_1)
	v_sub_f32_e32 v4, v4, v6
	s_mov_b32 s6, exec_lo
	v_add_f32_e32 v2, v4, v2
	v_cvt_i32_f32_e32 v4, v6
	s_delay_alu instid0(VALU_DEP_2) | instskip(SKIP_2) | instid1(VALU_DEP_1)
	v_exp_f32_e32 v2, v2
	s_waitcnt_depctr 0xfff
	v_ldexp_f32 v2, v2, v4
	v_cndmask_b32_e32 v2, 0, v2, vcc_lo
	v_cmp_ngt_f32_e32 vcc_lo, 0xc2b17218, v3
	s_delay_alu instid0(VALU_DEP_2) | instskip(NEXT) | instid1(VALU_DEP_1)
	v_cndmask_b32_e32 v2, 0x7f800000, v2, vcc_lo
	v_add_f32_e32 v2, 1.0, v2
	s_delay_alu instid0(VALU_DEP_1) | instskip(SKIP_1) | instid1(VALU_DEP_2)
	v_div_scale_f32 v4, null, v2, v2, 1.0
	v_div_scale_f32 v7, vcc_lo, 1.0, v2, 1.0
	v_rcp_f32_e32 v5, v4
	s_waitcnt_depctr 0xfff
	v_fma_f32 v6, -v4, v5, 1.0
	s_delay_alu instid0(VALU_DEP_1) | instskip(NEXT) | instid1(VALU_DEP_1)
	v_fmac_f32_e32 v5, v6, v5
	v_mul_f32_e32 v6, v7, v5
	s_delay_alu instid0(VALU_DEP_1) | instskip(NEXT) | instid1(VALU_DEP_1)
	v_fma_f32 v8, -v4, v6, v7
	v_fmac_f32_e32 v6, v8, v5
	s_delay_alu instid0(VALU_DEP_1) | instskip(NEXT) | instid1(VALU_DEP_1)
	v_fma_f32 v4, -v4, v6, v7
	v_div_fmas_f32 v4, v4, v5, v6
	s_delay_alu instid0(VALU_DEP_1) | instskip(NEXT) | instid1(VALU_DEP_1)
	v_div_fixup_f32 v2, v4, v2, 1.0
	v_mul_f32_e32 v2, v2, v3
	s_waitcnt vmcnt(0)
	v_cvt_f32_f16_e32 v1, v1
	s_delay_alu instid0(VALU_DEP_1) | instskip(NEXT) | instid1(VALU_DEP_1)
	v_dual_mul_f32 v1, v2, v1 :: v_dual_lshlrev_b32 v2, 2, v0
	v_and_b32_e32 v3, 0x7fffffff, v1
	ds_store_b32 v2, v3
	s_waitcnt lgkmcnt(0)
	s_barrier
	buffer_gl0_inv
	v_cmpx_gt_u32_e32 32, v0
	s_cbranch_execz .LBB19_2
; %bb.1:
	ds_load_2addr_b32 v[3:4], v2 offset1:32
	s_waitcnt lgkmcnt(0)
	v_dual_max_f32 v4, v4, v4 :: v_dual_max_f32 v3, v3, v3
	s_delay_alu instid0(VALU_DEP_1)
	v_max_f32_e32 v3, v3, v4
	ds_store_b32 v2, v3
.LBB19_2:
	s_or_b32 exec_lo, exec_lo, s6
	s_delay_alu instid0(SALU_CYCLE_1)
	s_mov_b32 s6, exec_lo
	s_waitcnt lgkmcnt(0)
	s_barrier
	buffer_gl0_inv
	v_cmpx_gt_u32_e32 16, v0
	s_cbranch_execz .LBB19_4
; %bb.3:
	ds_load_2addr_b32 v[3:4], v2 offset1:16
	s_waitcnt lgkmcnt(0)
	v_dual_max_f32 v4, v4, v4 :: v_dual_max_f32 v3, v3, v3
	s_delay_alu instid0(VALU_DEP_1)
	v_max_f32_e32 v3, v3, v4
	ds_store_b32 v2, v3
.LBB19_4:
	s_or_b32 exec_lo, exec_lo, s6
	s_delay_alu instid0(SALU_CYCLE_1)
	s_mov_b32 s6, exec_lo
	;; [unrolled: 16-line block ×4, first 2 shown]
	s_waitcnt lgkmcnt(0)
	s_barrier
	buffer_gl0_inv
	v_cmpx_gt_u32_e32 2, v0
	s_cbranch_execz .LBB19_10
; %bb.9:
	ds_load_2addr_b32 v[3:4], v2 offset1:2
	s_waitcnt lgkmcnt(0)
	v_dual_max_f32 v4, v4, v4 :: v_dual_max_f32 v3, v3, v3
	s_delay_alu instid0(VALU_DEP_1)
	v_max_f32_e32 v3, v3, v4
	ds_store_b32 v2, v3
.LBB19_10:
	s_or_b32 exec_lo, exec_lo, s6
	v_cmp_eq_u32_e32 vcc_lo, 0, v0
	s_waitcnt lgkmcnt(0)
	s_barrier
	buffer_gl0_inv
	s_and_saveexec_b32 s6, vcc_lo
	s_cbranch_execz .LBB19_12
; %bb.11:
	v_mov_b32_e32 v3, 0
	ds_load_b32 v3, v3 offset:4
	ds_load_b32 v4, v2
	s_waitcnt lgkmcnt(0)
	v_dual_max_f32 v3, v3, v3 :: v_dual_max_f32 v4, v4, v4
	s_delay_alu instid0(VALU_DEP_1)
	v_max_f32_e32 v3, v4, v3
	ds_store_b32 v2, v3
.LBB19_12:
	s_or_b32 exec_lo, exec_lo, s6
	s_load_b64 s[6:7], s[0:1], 0x0
	s_waitcnt lgkmcnt(0)
	s_barrier
	buffer_gl0_inv
	s_and_saveexec_b32 s11, vcc_lo
	s_cbranch_execz .LBB19_16
; %bb.13:
	v_mov_b32_e32 v2, 0
	ds_load_b32 v3, v2
	s_clause 0x1
	s_load_b64 s[8:9], s[0:1], 0x18
	s_load_b64 s[0:1], s[0:1], 0x8
	s_waitcnt lgkmcnt(0)
	s_cmp_eq_u64 s[8:9], 0
	v_div_scale_f32 v4, null, 0x43600000, 0x43600000, v3
	s_delay_alu instid0(VALU_DEP_1) | instskip(SKIP_2) | instid1(VALU_DEP_1)
	v_rcp_f32_e32 v5, v4
	s_waitcnt_depctr 0xfff
	v_fma_f32 v6, -v4, v5, 1.0
	v_fmac_f32_e32 v5, v6, v5
	v_div_scale_f32 v6, vcc_lo, v3, 0x43600000, v3
	s_delay_alu instid0(VALU_DEP_1) | instskip(NEXT) | instid1(VALU_DEP_1)
	v_mul_f32_e32 v7, v6, v5
	v_fma_f32 v8, -v4, v7, v6
	s_delay_alu instid0(VALU_DEP_1) | instskip(NEXT) | instid1(VALU_DEP_1)
	v_fmac_f32_e32 v7, v8, v5
	v_fma_f32 v4, -v4, v7, v6
	s_delay_alu instid0(VALU_DEP_1) | instskip(NEXT) | instid1(VALU_DEP_1)
	v_div_fmas_f32 v4, v4, v5, v7
	v_div_fixup_f32 v3, v4, 0x43600000, v3
	s_cbranch_scc1 .LBB19_15
; %bb.14:
	s_load_b32 s8, s[8:9], 0x0
	s_delay_alu instid0(VALU_DEP_1) | instskip(SKIP_2) | instid1(VALU_DEP_1)
	v_max_f32_e32 v3, v3, v3
	s_waitcnt lgkmcnt(0)
	v_max_f32_e64 v4, s8, s8
	v_min_f32_e32 v3, v3, v4
.LBB19_15:
	s_mul_i32 s8, s5, s14
	s_delay_alu instid0(VALU_DEP_1) | instskip(SKIP_3) | instid1(VALU_DEP_1)
	v_max_f32_e32 v3, v3, v3
	s_ashr_i32 s9, s8, 31
	s_ashr_i32 s5, s4, 31
	s_lshl_b64 s[8:9], s[8:9], 2
	v_max_f32_e32 v3, 0x37124925, v3
	s_add_u32 s8, s0, s8
	s_addc_u32 s9, s1, s9
	s_lshl_b64 s[0:1], s[4:5], 2
	s_delay_alu instid0(SALU_CYCLE_1)
	s_add_u32 s0, s8, s0
	s_addc_u32 s1, s9, s1
	ds_store_b32 v2, v3
	global_store_b32 v2, v3, s[0:1]
.LBB19_16:
	s_or_b32 exec_lo, exec_lo, s11
	v_mov_b32_e32 v2, 0
	s_waitcnt lgkmcnt(0)
	s_waitcnt_vscnt null, 0x0
	s_barrier
	buffer_gl0_inv
	s_mov_b32 s0, 0x43600000
	ds_load_b32 v2, v2
	s_waitcnt lgkmcnt(0)
	v_div_scale_f32 v3, null, v2, v2, v1
	v_div_scale_f32 v6, vcc_lo, v1, v2, v1
	s_delay_alu instid0(VALU_DEP_2) | instskip(SKIP_2) | instid1(VALU_DEP_1)
	v_rcp_f32_e32 v4, v3
	s_waitcnt_depctr 0xfff
	v_fma_f32 v5, -v3, v4, 1.0
	v_fmac_f32_e32 v4, v5, v4
	s_delay_alu instid0(VALU_DEP_1) | instskip(NEXT) | instid1(VALU_DEP_1)
	v_mul_f32_e32 v5, v6, v4
	v_fma_f32 v7, -v3, v5, v6
	s_delay_alu instid0(VALU_DEP_1) | instskip(NEXT) | instid1(VALU_DEP_1)
	v_fmac_f32_e32 v5, v7, v4
	v_fma_f32 v3, -v3, v5, v6
	s_delay_alu instid0(VALU_DEP_1) | instskip(NEXT) | instid1(VALU_DEP_1)
	v_div_fmas_f32 v3, v3, v4, v5
	v_div_fixup_f32 v1, v3, v2, v1
	v_mov_b32_e32 v3, 0x80
	s_delay_alu instid0(VALU_DEP_2) | instskip(SKIP_1) | instid1(VALU_DEP_1)
	v_minmax_f32 v1, v1, s0, 0xc3600000
	s_mov_b32 s0, exec_lo
	v_and_b32_e32 v2, 0x7fffffff, v1
	s_delay_alu instid0(VALU_DEP_1)
	v_cmpx_gt_u32_e32 0x43800000, v2
	s_cbranch_execz .LBB19_22
; %bb.17:
	v_cmp_lt_u32_e32 vcc_lo, 0x3bffffff, v2
	s_mov_b32 s1, 0
                                        ; implicit-def: $vgpr2
	s_and_saveexec_b32 s4, vcc_lo
	s_delay_alu instid0(SALU_CYCLE_1)
	s_xor_b32 s4, exec_lo, s4
	s_cbranch_execnz .LBB19_23
; %bb.18:
	s_or_saveexec_b32 s4, s4
                                        ; implicit-def: $sgpr5
	s_delay_alu instid0(SALU_CYCLE_1)
	s_xor_b32 exec_lo, exec_lo, s4
	s_cbranch_execnz .LBB19_24
.LBB19_19:
	s_or_b32 exec_lo, exec_lo, s4
	v_mov_b32_e32 v3, s5
	s_and_saveexec_b32 s4, s1
.LBB19_20:
	v_lshrrev_b32_e32 v1, 24, v1
	s_delay_alu instid0(VALU_DEP_1)
	v_and_or_b32 v3, 0x80, v1, v2
.LBB19_21:
	s_or_b32 exec_lo, exec_lo, s4
.LBB19_22:
	s_delay_alu instid0(SALU_CYCLE_1)
	s_or_b32 exec_lo, exec_lo, s0
	s_ashr_i32 s0, s10, 31
	s_add_u32 s1, s6, s10
	s_addc_u32 s0, s7, s0
	s_add_u32 s1, s1, s2
	s_addc_u32 s0, s0, s3
	v_add_co_u32 v0, s1, s1, v0
	s_delay_alu instid0(VALU_DEP_1)
	v_add_co_ci_u32_e64 v1, null, s0, 0, s1
	global_store_b8 v[0:1], v3, off
	s_nop 0
	s_sendmsg sendmsg(MSG_DEALLOC_VGPRS)
	s_endpgm
.LBB19_23:
	v_bfe_u32 v2, v1, 20, 1
	s_mov_b32 s1, exec_lo
	s_delay_alu instid0(VALU_DEP_1) | instskip(NEXT) | instid1(VALU_DEP_1)
	v_add3_u32 v2, v1, v2, 0x487ffff
	v_lshrrev_b32_e32 v2, 20, v2
	s_or_saveexec_b32 s4, s4
                                        ; implicit-def: $sgpr5
	s_delay_alu instid0(SALU_CYCLE_1)
	s_xor_b32 exec_lo, exec_lo, s4
	s_cbranch_execz .LBB19_19
.LBB19_24:
	v_add_f32_e64 v2, 0x46000000, |v1|
	s_and_not1_b32 s1, s1, exec_lo
	s_mov_b32 s5, 0
	s_delay_alu instid0(VALU_DEP_1) | instskip(NEXT) | instid1(VALU_DEP_1)
	v_and_b32_e32 v2, 0xff, v2
	v_cmp_ne_u32_e32 vcc_lo, 0, v2
	s_and_b32 s8, vcc_lo, exec_lo
	s_delay_alu instid0(SALU_CYCLE_1)
	s_or_b32 s1, s1, s8
	s_or_b32 exec_lo, exec_lo, s4
	v_mov_b32_e32 v3, s5
	s_and_saveexec_b32 s4, s1
	s_cbranch_execnz .LBB19_20
	s_branch .LBB19_21
	.section	.rodata,"a",@progbits
	.p2align	6, 0x0
	.amdhsa_kernel _ZN4vllm35silu_and_mul_per_block_quant_kernelIN3c104HalfENS1_15Float8_e4m3fnuzELb0ELi64EEEvPT0_PfPKT_PKfi
		.amdhsa_group_segment_fixed_size 256
		.amdhsa_private_segment_fixed_size 0
		.amdhsa_kernarg_size 296
		.amdhsa_user_sgpr_count 14
		.amdhsa_user_sgpr_dispatch_ptr 0
		.amdhsa_user_sgpr_queue_ptr 0
		.amdhsa_user_sgpr_kernarg_segment_ptr 1
		.amdhsa_user_sgpr_dispatch_id 0
		.amdhsa_user_sgpr_private_segment_size 0
		.amdhsa_wavefront_size32 1
		.amdhsa_uses_dynamic_stack 0
		.amdhsa_enable_private_segment 0
		.amdhsa_system_sgpr_workgroup_id_x 1
		.amdhsa_system_sgpr_workgroup_id_y 1
		.amdhsa_system_sgpr_workgroup_id_z 0
		.amdhsa_system_sgpr_workgroup_info 0
		.amdhsa_system_vgpr_workitem_id 0
		.amdhsa_next_free_vgpr 9
		.amdhsa_next_free_sgpr 16
		.amdhsa_reserve_vcc 1
		.amdhsa_float_round_mode_32 0
		.amdhsa_float_round_mode_16_64 0
		.amdhsa_float_denorm_mode_32 3
		.amdhsa_float_denorm_mode_16_64 3
		.amdhsa_dx10_clamp 1
		.amdhsa_ieee_mode 1
		.amdhsa_fp16_overflow 0
		.amdhsa_workgroup_processor_mode 1
		.amdhsa_memory_ordered 1
		.amdhsa_forward_progress 0
		.amdhsa_shared_vgpr_count 0
		.amdhsa_exception_fp_ieee_invalid_op 0
		.amdhsa_exception_fp_denorm_src 0
		.amdhsa_exception_fp_ieee_div_zero 0
		.amdhsa_exception_fp_ieee_overflow 0
		.amdhsa_exception_fp_ieee_underflow 0
		.amdhsa_exception_fp_ieee_inexact 0
		.amdhsa_exception_int_div_zero 0
	.end_amdhsa_kernel
	.section	.text._ZN4vllm35silu_and_mul_per_block_quant_kernelIN3c104HalfENS1_15Float8_e4m3fnuzELb0ELi64EEEvPT0_PfPKT_PKfi,"axG",@progbits,_ZN4vllm35silu_and_mul_per_block_quant_kernelIN3c104HalfENS1_15Float8_e4m3fnuzELb0ELi64EEEvPT0_PfPKT_PKfi,comdat
.Lfunc_end19:
	.size	_ZN4vllm35silu_and_mul_per_block_quant_kernelIN3c104HalfENS1_15Float8_e4m3fnuzELb0ELi64EEEvPT0_PfPKT_PKfi, .Lfunc_end19-_ZN4vllm35silu_and_mul_per_block_quant_kernelIN3c104HalfENS1_15Float8_e4m3fnuzELb0ELi64EEEvPT0_PfPKT_PKfi
                                        ; -- End function
	.section	.AMDGPU.csdata,"",@progbits
; Kernel info:
; codeLenInByte = 1572
; NumSgprs: 18
; NumVgprs: 9
; ScratchSize: 0
; MemoryBound: 0
; FloatMode: 240
; IeeeMode: 1
; LDSByteSize: 256 bytes/workgroup (compile time only)
; SGPRBlocks: 2
; VGPRBlocks: 1
; NumSGPRsForWavesPerEU: 18
; NumVGPRsForWavesPerEU: 9
; Occupancy: 16
; WaveLimiterHint : 0
; COMPUTE_PGM_RSRC2:SCRATCH_EN: 0
; COMPUTE_PGM_RSRC2:USER_SGPR: 14
; COMPUTE_PGM_RSRC2:TRAP_HANDLER: 0
; COMPUTE_PGM_RSRC2:TGID_X_EN: 1
; COMPUTE_PGM_RSRC2:TGID_Y_EN: 1
; COMPUTE_PGM_RSRC2:TGID_Z_EN: 0
; COMPUTE_PGM_RSRC2:TIDIG_COMP_CNT: 0
	.section	.text._ZN4vllm35silu_and_mul_per_block_quant_kernelIN3c104HalfEaLb1ELi128EEEvPT0_PfPKT_PKfi,"axG",@progbits,_ZN4vllm35silu_and_mul_per_block_quant_kernelIN3c104HalfEaLb1ELi128EEEvPT0_PfPKT_PKfi,comdat
	.protected	_ZN4vllm35silu_and_mul_per_block_quant_kernelIN3c104HalfEaLb1ELi128EEEvPT0_PfPKT_PKfi ; -- Begin function _ZN4vllm35silu_and_mul_per_block_quant_kernelIN3c104HalfEaLb1ELi128EEEvPT0_PfPKT_PKfi
	.globl	_ZN4vllm35silu_and_mul_per_block_quant_kernelIN3c104HalfEaLb1ELi128EEEvPT0_PfPKT_PKfi
	.p2align	8
	.type	_ZN4vllm35silu_and_mul_per_block_quant_kernelIN3c104HalfEaLb1ELi128EEEvPT0_PfPKT_PKfi,@function
_ZN4vllm35silu_and_mul_per_block_quant_kernelIN3c104HalfEaLb1ELi128EEEvPT0_PfPKT_PKfi: ; @_ZN4vllm35silu_and_mul_per_block_quant_kernelIN3c104HalfEaLb1ELi128EEEvPT0_PfPKT_PKfi
; %bb.0:
	s_clause 0x2
	s_load_b32 s4, s[0:1], 0x20
	s_load_b64 s[8:9], s[0:1], 0x10
	s_load_b32 s3, s[0:1], 0x28
	s_lshl_b32 s6, s15, 7
	v_lshlrev_b32_e32 v1, 1, v0
	s_mov_b32 s2, s15
	s_waitcnt lgkmcnt(0)
	s_mul_i32 s5, s14, s4
	s_delay_alu instid0(SALU_CYCLE_1) | instskip(SKIP_2) | instid1(SALU_CYCLE_1)
	s_lshl_b32 s10, s5, 1
	s_ashr_i32 s5, s4, 31
	s_ashr_i32 s11, s10, 31
	s_lshl_b64 s[10:11], s[10:11], 1
	s_delay_alu instid0(SALU_CYCLE_1) | instskip(SKIP_2) | instid1(SALU_CYCLE_1)
	s_add_u32 s10, s8, s10
	s_addc_u32 s11, s9, s11
	s_ashr_i32 s7, s6, 31
	s_lshl_b64 s[8:9], s[6:7], 1
	s_delay_alu instid0(SALU_CYCLE_1)
	s_add_u32 s8, s10, s8
	s_addc_u32 s9, s11, s9
	s_lshl_b64 s[10:11], s[4:5], 1
	global_load_u16 v2, v1, s[8:9]
	s_add_u32 s8, s8, s10
	s_addc_u32 s9, s9, s11
	s_mov_b32 s5, 0xbfb8aa3b
	s_waitcnt vmcnt(0)
	v_cvt_f32_f16_e32 v3, v2
	s_delay_alu instid0(VALU_DEP_1)
	v_mul_f32_e32 v4, 0xbfb8aa3b, v3
	global_load_u16 v1, v1, s[8:9]
	v_cmp_nlt_f32_e32 vcc_lo, 0x42ce8ed0, v3
	v_fma_mix_f32 v5, v2, s5, -v4 op_sel_hi:[1,0,0]
	v_rndne_f32_e32 v6, v4
	s_mov_b32 s5, 0xb2a5705f
	s_delay_alu instid0(VALU_DEP_2) | instid1(SALU_CYCLE_1)
	v_fma_mix_f32 v2, v2, s5, v5 op_sel_hi:[1,0,0]
	s_delay_alu instid0(VALU_DEP_2) | instskip(SKIP_1) | instid1(VALU_DEP_1)
	v_sub_f32_e32 v4, v4, v6
	s_mov_b32 s5, exec_lo
	v_add_f32_e32 v2, v4, v2
	v_cvt_i32_f32_e32 v4, v6
	s_delay_alu instid0(VALU_DEP_2) | instskip(SKIP_2) | instid1(VALU_DEP_1)
	v_exp_f32_e32 v2, v2
	s_waitcnt_depctr 0xfff
	v_ldexp_f32 v2, v2, v4
	v_cndmask_b32_e32 v2, 0, v2, vcc_lo
	v_cmp_ngt_f32_e32 vcc_lo, 0xc2b17218, v3
	s_delay_alu instid0(VALU_DEP_2) | instskip(NEXT) | instid1(VALU_DEP_1)
	v_cndmask_b32_e32 v2, 0x7f800000, v2, vcc_lo
	v_add_f32_e32 v2, 1.0, v2
	s_delay_alu instid0(VALU_DEP_1) | instskip(SKIP_1) | instid1(VALU_DEP_2)
	v_div_scale_f32 v4, null, v2, v2, 1.0
	v_div_scale_f32 v7, vcc_lo, 1.0, v2, 1.0
	v_rcp_f32_e32 v5, v4
	s_waitcnt_depctr 0xfff
	v_fma_f32 v6, -v4, v5, 1.0
	s_delay_alu instid0(VALU_DEP_1) | instskip(NEXT) | instid1(VALU_DEP_1)
	v_fmac_f32_e32 v5, v6, v5
	v_mul_f32_e32 v6, v7, v5
	s_delay_alu instid0(VALU_DEP_1) | instskip(NEXT) | instid1(VALU_DEP_1)
	v_fma_f32 v8, -v4, v6, v7
	v_fmac_f32_e32 v6, v8, v5
	s_delay_alu instid0(VALU_DEP_1) | instskip(NEXT) | instid1(VALU_DEP_1)
	v_fma_f32 v4, -v4, v6, v7
	v_div_fmas_f32 v4, v4, v5, v6
	s_delay_alu instid0(VALU_DEP_1) | instskip(NEXT) | instid1(VALU_DEP_1)
	v_div_fixup_f32 v2, v4, v2, 1.0
	v_mul_f32_e32 v2, v2, v3
	s_waitcnt vmcnt(0)
	v_cvt_f32_f16_e32 v1, v1
	s_delay_alu instid0(VALU_DEP_1) | instskip(NEXT) | instid1(VALU_DEP_1)
	v_dual_mul_f32 v1, v2, v1 :: v_dual_lshlrev_b32 v2, 2, v0
	v_and_b32_e32 v3, 0x7fffffff, v1
	ds_store_b32 v2, v3
	s_waitcnt lgkmcnt(0)
	s_barrier
	buffer_gl0_inv
	v_cmpx_gt_u32_e32 64, v0
	s_cbranch_execz .LBB20_2
; %bb.1:
	ds_load_2addr_stride64_b32 v[3:4], v2 offset1:1
	s_waitcnt lgkmcnt(0)
	v_dual_max_f32 v4, v4, v4 :: v_dual_max_f32 v3, v3, v3
	s_delay_alu instid0(VALU_DEP_1)
	v_max_f32_e32 v3, v3, v4
	ds_store_b32 v2, v3
.LBB20_2:
	s_or_b32 exec_lo, exec_lo, s5
	s_delay_alu instid0(SALU_CYCLE_1)
	s_mov_b32 s5, exec_lo
	s_waitcnt lgkmcnt(0)
	s_barrier
	buffer_gl0_inv
	v_cmpx_gt_u32_e32 32, v0
	s_cbranch_execz .LBB20_4
; %bb.3:
	ds_load_2addr_b32 v[3:4], v2 offset1:32
	s_waitcnt lgkmcnt(0)
	v_dual_max_f32 v4, v4, v4 :: v_dual_max_f32 v3, v3, v3
	s_delay_alu instid0(VALU_DEP_1)
	v_max_f32_e32 v3, v3, v4
	ds_store_b32 v2, v3
.LBB20_4:
	s_or_b32 exec_lo, exec_lo, s5
	s_delay_alu instid0(SALU_CYCLE_1)
	s_mov_b32 s5, exec_lo
	s_waitcnt lgkmcnt(0)
	s_barrier
	buffer_gl0_inv
	v_cmpx_gt_u32_e32 16, v0
	s_cbranch_execz .LBB20_6
; %bb.5:
	ds_load_2addr_b32 v[3:4], v2 offset1:16
	s_waitcnt lgkmcnt(0)
	v_dual_max_f32 v4, v4, v4 :: v_dual_max_f32 v3, v3, v3
	s_delay_alu instid0(VALU_DEP_1)
	v_max_f32_e32 v3, v3, v4
	ds_store_b32 v2, v3
.LBB20_6:
	;; [unrolled: 16-line block ×5, first 2 shown]
	s_or_b32 exec_lo, exec_lo, s5
	v_cmp_eq_u32_e32 vcc_lo, 0, v0
	s_waitcnt lgkmcnt(0)
	s_barrier
	buffer_gl0_inv
	s_and_saveexec_b32 s5, vcc_lo
	s_cbranch_execz .LBB20_14
; %bb.13:
	v_mov_b32_e32 v3, 0
	ds_load_b32 v3, v3 offset:4
	ds_load_b32 v4, v2
	s_waitcnt lgkmcnt(0)
	v_dual_max_f32 v3, v3, v3 :: v_dual_max_f32 v4, v4, v4
	s_delay_alu instid0(VALU_DEP_1)
	v_max_f32_e32 v3, v4, v3
	ds_store_b32 v2, v3
.LBB20_14:
	s_or_b32 exec_lo, exec_lo, s5
	s_load_b64 s[8:9], s[0:1], 0x0
	s_ashr_i32 s15, s14, 31
	s_waitcnt lgkmcnt(0)
	s_barrier
	buffer_gl0_inv
	s_and_saveexec_b32 s5, vcc_lo
	s_cbranch_execz .LBB20_18
; %bb.15:
	v_mov_b32_e32 v2, 0
	ds_load_b32 v3, v2
	s_clause 0x1
	s_load_b64 s[10:11], s[0:1], 0x18
	s_load_b64 s[0:1], s[0:1], 0x8
	s_waitcnt lgkmcnt(0)
	s_cmp_eq_u64 s[10:11], 0
	v_div_scale_f32 v4, null, 0x42fe0000, 0x42fe0000, v3
	s_delay_alu instid0(VALU_DEP_1) | instskip(SKIP_2) | instid1(VALU_DEP_1)
	v_rcp_f32_e32 v5, v4
	s_waitcnt_depctr 0xfff
	v_fma_f32 v6, -v4, v5, 1.0
	v_fmac_f32_e32 v5, v6, v5
	v_div_scale_f32 v6, vcc_lo, v3, 0x42fe0000, v3
	s_delay_alu instid0(VALU_DEP_1) | instskip(NEXT) | instid1(VALU_DEP_1)
	v_mul_f32_e32 v7, v6, v5
	v_fma_f32 v8, -v4, v7, v6
	s_delay_alu instid0(VALU_DEP_1) | instskip(NEXT) | instid1(VALU_DEP_1)
	v_fmac_f32_e32 v7, v8, v5
	v_fma_f32 v4, -v4, v7, v6
	s_delay_alu instid0(VALU_DEP_1) | instskip(NEXT) | instid1(VALU_DEP_1)
	v_div_fmas_f32 v4, v4, v5, v7
	v_div_fixup_f32 v3, v4, 0x42fe0000, v3
	s_cbranch_scc1 .LBB20_17
; %bb.16:
	s_load_b32 s10, s[10:11], 0x0
	s_delay_alu instid0(VALU_DEP_1) | instskip(SKIP_2) | instid1(VALU_DEP_1)
	v_max_f32_e32 v3, v3, v3
	s_waitcnt lgkmcnt(0)
	v_max_f32_e64 v4, s10, s10
	v_min_f32_e32 v3, v3, v4
.LBB20_17:
	s_mul_i32 s2, s3, s2
	s_delay_alu instid0(VALU_DEP_1) | instskip(SKIP_1) | instid1(SALU_CYCLE_1)
	v_max_f32_e32 v3, v3, v3
	s_ashr_i32 s3, s2, 31
	s_lshl_b64 s[2:3], s[2:3], 2
	s_delay_alu instid0(VALU_DEP_1) | instskip(SKIP_3) | instid1(SALU_CYCLE_1)
	v_max_f32_e32 v3, 0x34000000, v3
	s_add_u32 s2, s0, s2
	s_addc_u32 s3, s1, s3
	s_lshl_b64 s[0:1], s[14:15], 2
	s_add_u32 s0, s2, s0
	s_addc_u32 s1, s3, s1
	ds_store_b32 v2, v3
	global_store_b32 v2, v3, s[0:1]
.LBB20_18:
	s_or_b32 exec_lo, exec_lo, s5
	v_mov_b32_e32 v2, 0
	s_waitcnt lgkmcnt(0)
	s_waitcnt_vscnt null, 0x0
	s_barrier
	buffer_gl0_inv
	s_mul_i32 s0, s14, s4
	ds_load_b32 v2, v2
	s_ashr_i32 s1, s0, 31
	s_add_u32 s0, s8, s0
	s_addc_u32 s1, s9, s1
	s_add_u32 s0, s0, s6
	s_addc_u32 s1, s1, s7
	v_add_co_u32 v0, s0, s0, v0
	s_waitcnt lgkmcnt(0)
	v_div_scale_f32 v3, null, v2, v2, v1
	v_div_scale_f32 v6, vcc_lo, v1, v2, v1
	s_delay_alu instid0(VALU_DEP_2) | instskip(SKIP_2) | instid1(VALU_DEP_1)
	v_rcp_f32_e32 v4, v3
	s_waitcnt_depctr 0xfff
	v_fma_f32 v5, -v3, v4, 1.0
	v_fmac_f32_e32 v4, v5, v4
	s_delay_alu instid0(VALU_DEP_1) | instskip(NEXT) | instid1(VALU_DEP_1)
	v_mul_f32_e32 v5, v6, v4
	v_fma_f32 v7, -v3, v5, v6
	s_delay_alu instid0(VALU_DEP_1) | instskip(NEXT) | instid1(VALU_DEP_1)
	v_fmac_f32_e32 v5, v7, v4
	v_fma_f32 v3, -v3, v5, v6
	s_delay_alu instid0(VALU_DEP_1) | instskip(NEXT) | instid1(VALU_DEP_1)
	v_div_fmas_f32 v3, v3, v4, v5
	v_div_fixup_f32 v1, v3, v2, v1
	s_delay_alu instid0(VALU_DEP_1) | instskip(NEXT) | instid1(VALU_DEP_1)
	v_rndne_f32_e32 v1, v1
	v_cmp_nlt_f32_e32 vcc_lo, 0x42fe0000, v1
	v_cndmask_b32_e32 v2, 0x42fe0000, v1, vcc_lo
	v_cmp_ngt_f32_e32 vcc_lo, 0xc3000000, v1
	s_delay_alu instid0(VALU_DEP_2) | instskip(NEXT) | instid1(VALU_DEP_1)
	v_cndmask_b32_e32 v1, 0xc3000000, v2, vcc_lo
	v_cvt_i32_f32_e32 v2, v1
	v_add_co_ci_u32_e64 v1, null, s1, 0, s0
	global_store_b8 v[0:1], v2, off
	s_nop 0
	s_sendmsg sendmsg(MSG_DEALLOC_VGPRS)
	s_endpgm
	.section	.rodata,"a",@progbits
	.p2align	6, 0x0
	.amdhsa_kernel _ZN4vllm35silu_and_mul_per_block_quant_kernelIN3c104HalfEaLb1ELi128EEEvPT0_PfPKT_PKfi
		.amdhsa_group_segment_fixed_size 512
		.amdhsa_private_segment_fixed_size 0
		.amdhsa_kernarg_size 296
		.amdhsa_user_sgpr_count 14
		.amdhsa_user_sgpr_dispatch_ptr 0
		.amdhsa_user_sgpr_queue_ptr 0
		.amdhsa_user_sgpr_kernarg_segment_ptr 1
		.amdhsa_user_sgpr_dispatch_id 0
		.amdhsa_user_sgpr_private_segment_size 0
		.amdhsa_wavefront_size32 1
		.amdhsa_uses_dynamic_stack 0
		.amdhsa_enable_private_segment 0
		.amdhsa_system_sgpr_workgroup_id_x 1
		.amdhsa_system_sgpr_workgroup_id_y 1
		.amdhsa_system_sgpr_workgroup_id_z 0
		.amdhsa_system_sgpr_workgroup_info 0
		.amdhsa_system_vgpr_workitem_id 0
		.amdhsa_next_free_vgpr 9
		.amdhsa_next_free_sgpr 16
		.amdhsa_reserve_vcc 1
		.amdhsa_float_round_mode_32 0
		.amdhsa_float_round_mode_16_64 0
		.amdhsa_float_denorm_mode_32 3
		.amdhsa_float_denorm_mode_16_64 3
		.amdhsa_dx10_clamp 1
		.amdhsa_ieee_mode 1
		.amdhsa_fp16_overflow 0
		.amdhsa_workgroup_processor_mode 1
		.amdhsa_memory_ordered 1
		.amdhsa_forward_progress 0
		.amdhsa_shared_vgpr_count 0
		.amdhsa_exception_fp_ieee_invalid_op 0
		.amdhsa_exception_fp_denorm_src 0
		.amdhsa_exception_fp_ieee_div_zero 0
		.amdhsa_exception_fp_ieee_overflow 0
		.amdhsa_exception_fp_ieee_underflow 0
		.amdhsa_exception_fp_ieee_inexact 0
		.amdhsa_exception_int_div_zero 0
	.end_amdhsa_kernel
	.section	.text._ZN4vllm35silu_and_mul_per_block_quant_kernelIN3c104HalfEaLb1ELi128EEEvPT0_PfPKT_PKfi,"axG",@progbits,_ZN4vllm35silu_and_mul_per_block_quant_kernelIN3c104HalfEaLb1ELi128EEEvPT0_PfPKT_PKfi,comdat
.Lfunc_end20:
	.size	_ZN4vllm35silu_and_mul_per_block_quant_kernelIN3c104HalfEaLb1ELi128EEEvPT0_PfPKT_PKfi, .Lfunc_end20-_ZN4vllm35silu_and_mul_per_block_quant_kernelIN3c104HalfEaLb1ELi128EEEvPT0_PfPKT_PKfi
                                        ; -- End function
	.section	.AMDGPU.csdata,"",@progbits
; Kernel info:
; codeLenInByte = 1428
; NumSgprs: 18
; NumVgprs: 9
; ScratchSize: 0
; MemoryBound: 0
; FloatMode: 240
; IeeeMode: 1
; LDSByteSize: 512 bytes/workgroup (compile time only)
; SGPRBlocks: 2
; VGPRBlocks: 1
; NumSGPRsForWavesPerEU: 18
; NumVGPRsForWavesPerEU: 9
; Occupancy: 16
; WaveLimiterHint : 0
; COMPUTE_PGM_RSRC2:SCRATCH_EN: 0
; COMPUTE_PGM_RSRC2:USER_SGPR: 14
; COMPUTE_PGM_RSRC2:TRAP_HANDLER: 0
; COMPUTE_PGM_RSRC2:TGID_X_EN: 1
; COMPUTE_PGM_RSRC2:TGID_Y_EN: 1
; COMPUTE_PGM_RSRC2:TGID_Z_EN: 0
; COMPUTE_PGM_RSRC2:TIDIG_COMP_CNT: 0
	.section	.text._ZN4vllm35silu_and_mul_per_block_quant_kernelIN3c104HalfEaLb0ELi128EEEvPT0_PfPKT_PKfi,"axG",@progbits,_ZN4vllm35silu_and_mul_per_block_quant_kernelIN3c104HalfEaLb0ELi128EEEvPT0_PfPKT_PKfi,comdat
	.protected	_ZN4vllm35silu_and_mul_per_block_quant_kernelIN3c104HalfEaLb0ELi128EEEvPT0_PfPKT_PKfi ; -- Begin function _ZN4vllm35silu_and_mul_per_block_quant_kernelIN3c104HalfEaLb0ELi128EEEvPT0_PfPKT_PKfi
	.globl	_ZN4vllm35silu_and_mul_per_block_quant_kernelIN3c104HalfEaLb0ELi128EEEvPT0_PfPKT_PKfi
	.p2align	8
	.type	_ZN4vllm35silu_and_mul_per_block_quant_kernelIN3c104HalfEaLb0ELi128EEEvPT0_PfPKT_PKfi,@function
_ZN4vllm35silu_and_mul_per_block_quant_kernelIN3c104HalfEaLb0ELi128EEEvPT0_PfPKT_PKfi: ; @_ZN4vllm35silu_and_mul_per_block_quant_kernelIN3c104HalfEaLb0ELi128EEEvPT0_PfPKT_PKfi
; %bb.0:
	s_clause 0x2
	s_load_b32 s6, s[0:1], 0x20
	s_load_b64 s[8:9], s[0:1], 0x10
	s_load_b32 s5, s[0:1], 0x2c
	s_lshl_b32 s2, s15, 7
	v_lshlrev_b32_e32 v1, 1, v0
	s_mov_b32 s4, s15
	s_waitcnt lgkmcnt(0)
	s_mul_i32 s10, s14, s6
	s_ashr_i32 s7, s6, 31
	s_lshl_b32 s12, s10, 1
	s_delay_alu instid0(SALU_CYCLE_1) | instskip(NEXT) | instid1(SALU_CYCLE_1)
	s_ashr_i32 s13, s12, 31
	s_lshl_b64 s[12:13], s[12:13], 1
	s_delay_alu instid0(SALU_CYCLE_1) | instskip(SKIP_2) | instid1(SALU_CYCLE_1)
	s_add_u32 s11, s8, s12
	s_addc_u32 s12, s9, s13
	s_ashr_i32 s3, s2, 31
	s_lshl_b64 s[8:9], s[2:3], 1
	s_delay_alu instid0(SALU_CYCLE_1)
	s_add_u32 s8, s11, s8
	s_addc_u32 s9, s12, s9
	s_lshl_b64 s[6:7], s[6:7], 1
	global_load_u16 v2, v1, s[8:9]
	s_add_u32 s6, s8, s6
	s_addc_u32 s7, s9, s7
	s_waitcnt vmcnt(0)
	v_cvt_f32_f16_e32 v3, v2
	s_delay_alu instid0(VALU_DEP_1)
	v_mul_f32_e32 v4, 0xbfb8aa3b, v3
	global_load_u16 v1, v1, s[6:7]
	s_mov_b32 s6, 0xbfb8aa3b
	v_cmp_nlt_f32_e32 vcc_lo, 0x42ce8ed0, v3
	v_fma_mix_f32 v5, v2, s6, -v4 op_sel_hi:[1,0,0]
	v_rndne_f32_e32 v6, v4
	s_mov_b32 s6, 0xb2a5705f
	s_delay_alu instid0(VALU_DEP_2) | instid1(SALU_CYCLE_1)
	v_fma_mix_f32 v2, v2, s6, v5 op_sel_hi:[1,0,0]
	s_delay_alu instid0(VALU_DEP_2) | instskip(SKIP_1) | instid1(VALU_DEP_1)
	v_sub_f32_e32 v4, v4, v6
	s_mov_b32 s6, exec_lo
	v_add_f32_e32 v2, v4, v2
	v_cvt_i32_f32_e32 v4, v6
	s_delay_alu instid0(VALU_DEP_2) | instskip(SKIP_2) | instid1(VALU_DEP_1)
	v_exp_f32_e32 v2, v2
	s_waitcnt_depctr 0xfff
	v_ldexp_f32 v2, v2, v4
	v_cndmask_b32_e32 v2, 0, v2, vcc_lo
	v_cmp_ngt_f32_e32 vcc_lo, 0xc2b17218, v3
	s_delay_alu instid0(VALU_DEP_2) | instskip(NEXT) | instid1(VALU_DEP_1)
	v_cndmask_b32_e32 v2, 0x7f800000, v2, vcc_lo
	v_add_f32_e32 v2, 1.0, v2
	s_delay_alu instid0(VALU_DEP_1) | instskip(SKIP_1) | instid1(VALU_DEP_2)
	v_div_scale_f32 v4, null, v2, v2, 1.0
	v_div_scale_f32 v7, vcc_lo, 1.0, v2, 1.0
	v_rcp_f32_e32 v5, v4
	s_waitcnt_depctr 0xfff
	v_fma_f32 v6, -v4, v5, 1.0
	s_delay_alu instid0(VALU_DEP_1) | instskip(NEXT) | instid1(VALU_DEP_1)
	v_fmac_f32_e32 v5, v6, v5
	v_mul_f32_e32 v6, v7, v5
	s_delay_alu instid0(VALU_DEP_1) | instskip(NEXT) | instid1(VALU_DEP_1)
	v_fma_f32 v8, -v4, v6, v7
	v_fmac_f32_e32 v6, v8, v5
	s_delay_alu instid0(VALU_DEP_1) | instskip(NEXT) | instid1(VALU_DEP_1)
	v_fma_f32 v4, -v4, v6, v7
	v_div_fmas_f32 v4, v4, v5, v6
	s_delay_alu instid0(VALU_DEP_1) | instskip(NEXT) | instid1(VALU_DEP_1)
	v_div_fixup_f32 v2, v4, v2, 1.0
	v_mul_f32_e32 v2, v2, v3
	s_waitcnt vmcnt(0)
	v_cvt_f32_f16_e32 v1, v1
	s_delay_alu instid0(VALU_DEP_1) | instskip(NEXT) | instid1(VALU_DEP_1)
	v_dual_mul_f32 v1, v2, v1 :: v_dual_lshlrev_b32 v2, 2, v0
	v_and_b32_e32 v3, 0x7fffffff, v1
	ds_store_b32 v2, v3
	s_waitcnt lgkmcnt(0)
	s_barrier
	buffer_gl0_inv
	v_cmpx_gt_u32_e32 64, v0
	s_cbranch_execz .LBB21_2
; %bb.1:
	ds_load_2addr_stride64_b32 v[3:4], v2 offset1:1
	s_waitcnt lgkmcnt(0)
	v_dual_max_f32 v4, v4, v4 :: v_dual_max_f32 v3, v3, v3
	s_delay_alu instid0(VALU_DEP_1)
	v_max_f32_e32 v3, v3, v4
	ds_store_b32 v2, v3
.LBB21_2:
	s_or_b32 exec_lo, exec_lo, s6
	s_delay_alu instid0(SALU_CYCLE_1)
	s_mov_b32 s6, exec_lo
	s_waitcnt lgkmcnt(0)
	s_barrier
	buffer_gl0_inv
	v_cmpx_gt_u32_e32 32, v0
	s_cbranch_execz .LBB21_4
; %bb.3:
	ds_load_2addr_b32 v[3:4], v2 offset1:32
	s_waitcnt lgkmcnt(0)
	v_dual_max_f32 v4, v4, v4 :: v_dual_max_f32 v3, v3, v3
	s_delay_alu instid0(VALU_DEP_1)
	v_max_f32_e32 v3, v3, v4
	ds_store_b32 v2, v3
.LBB21_4:
	s_or_b32 exec_lo, exec_lo, s6
	s_delay_alu instid0(SALU_CYCLE_1)
	s_mov_b32 s6, exec_lo
	s_waitcnt lgkmcnt(0)
	s_barrier
	buffer_gl0_inv
	v_cmpx_gt_u32_e32 16, v0
	s_cbranch_execz .LBB21_6
; %bb.5:
	ds_load_2addr_b32 v[3:4], v2 offset1:16
	s_waitcnt lgkmcnt(0)
	v_dual_max_f32 v4, v4, v4 :: v_dual_max_f32 v3, v3, v3
	s_delay_alu instid0(VALU_DEP_1)
	v_max_f32_e32 v3, v3, v4
	ds_store_b32 v2, v3
.LBB21_6:
	;; [unrolled: 16-line block ×5, first 2 shown]
	s_or_b32 exec_lo, exec_lo, s6
	v_cmp_eq_u32_e32 vcc_lo, 0, v0
	s_waitcnt lgkmcnt(0)
	s_barrier
	buffer_gl0_inv
	s_and_saveexec_b32 s6, vcc_lo
	s_cbranch_execz .LBB21_14
; %bb.13:
	v_mov_b32_e32 v3, 0
	ds_load_b32 v3, v3 offset:4
	ds_load_b32 v4, v2
	s_waitcnt lgkmcnt(0)
	v_dual_max_f32 v3, v3, v3 :: v_dual_max_f32 v4, v4, v4
	s_delay_alu instid0(VALU_DEP_1)
	v_max_f32_e32 v3, v4, v3
	ds_store_b32 v2, v3
.LBB21_14:
	s_or_b32 exec_lo, exec_lo, s6
	s_load_b64 s[6:7], s[0:1], 0x0
	s_waitcnt lgkmcnt(0)
	s_barrier
	buffer_gl0_inv
	s_and_saveexec_b32 s11, vcc_lo
	s_cbranch_execz .LBB21_18
; %bb.15:
	v_mov_b32_e32 v2, 0
	ds_load_b32 v3, v2
	s_clause 0x1
	s_load_b64 s[8:9], s[0:1], 0x18
	s_load_b64 s[0:1], s[0:1], 0x8
	s_waitcnt lgkmcnt(0)
	s_cmp_eq_u64 s[8:9], 0
	v_div_scale_f32 v4, null, 0x42fe0000, 0x42fe0000, v3
	s_delay_alu instid0(VALU_DEP_1) | instskip(SKIP_2) | instid1(VALU_DEP_1)
	v_rcp_f32_e32 v5, v4
	s_waitcnt_depctr 0xfff
	v_fma_f32 v6, -v4, v5, 1.0
	v_fmac_f32_e32 v5, v6, v5
	v_div_scale_f32 v6, vcc_lo, v3, 0x42fe0000, v3
	s_delay_alu instid0(VALU_DEP_1) | instskip(NEXT) | instid1(VALU_DEP_1)
	v_mul_f32_e32 v7, v6, v5
	v_fma_f32 v8, -v4, v7, v6
	s_delay_alu instid0(VALU_DEP_1) | instskip(NEXT) | instid1(VALU_DEP_1)
	v_fmac_f32_e32 v7, v8, v5
	v_fma_f32 v4, -v4, v7, v6
	s_delay_alu instid0(VALU_DEP_1) | instskip(NEXT) | instid1(VALU_DEP_1)
	v_div_fmas_f32 v4, v4, v5, v7
	v_div_fixup_f32 v3, v4, 0x42fe0000, v3
	s_cbranch_scc1 .LBB21_17
; %bb.16:
	s_load_b32 s8, s[8:9], 0x0
	s_delay_alu instid0(VALU_DEP_1) | instskip(SKIP_2) | instid1(VALU_DEP_1)
	v_max_f32_e32 v3, v3, v3
	s_waitcnt lgkmcnt(0)
	v_max_f32_e64 v4, s8, s8
	v_min_f32_e32 v3, v3, v4
.LBB21_17:
	s_mul_i32 s8, s5, s14
	s_delay_alu instid0(VALU_DEP_1) | instskip(SKIP_3) | instid1(VALU_DEP_1)
	v_max_f32_e32 v3, v3, v3
	s_ashr_i32 s9, s8, 31
	s_ashr_i32 s5, s4, 31
	s_lshl_b64 s[8:9], s[8:9], 2
	v_max_f32_e32 v3, 0x34000000, v3
	s_add_u32 s8, s0, s8
	s_addc_u32 s9, s1, s9
	s_lshl_b64 s[0:1], s[4:5], 2
	s_delay_alu instid0(SALU_CYCLE_1)
	s_add_u32 s0, s8, s0
	s_addc_u32 s1, s9, s1
	ds_store_b32 v2, v3
	global_store_b32 v2, v3, s[0:1]
.LBB21_18:
	s_or_b32 exec_lo, exec_lo, s11
	v_mov_b32_e32 v2, 0
	s_waitcnt lgkmcnt(0)
	s_waitcnt_vscnt null, 0x0
	s_barrier
	buffer_gl0_inv
	s_ashr_i32 s0, s10, 31
	ds_load_b32 v2, v2
	s_add_u32 s1, s6, s10
	s_addc_u32 s0, s7, s0
	s_add_u32 s1, s1, s2
	s_addc_u32 s0, s0, s3
	v_add_co_u32 v0, s1, s1, v0
	s_waitcnt lgkmcnt(0)
	v_div_scale_f32 v3, null, v2, v2, v1
	v_div_scale_f32 v6, vcc_lo, v1, v2, v1
	s_delay_alu instid0(VALU_DEP_2) | instskip(SKIP_2) | instid1(VALU_DEP_1)
	v_rcp_f32_e32 v4, v3
	s_waitcnt_depctr 0xfff
	v_fma_f32 v5, -v3, v4, 1.0
	v_fmac_f32_e32 v4, v5, v4
	s_delay_alu instid0(VALU_DEP_1) | instskip(NEXT) | instid1(VALU_DEP_1)
	v_mul_f32_e32 v5, v6, v4
	v_fma_f32 v7, -v3, v5, v6
	s_delay_alu instid0(VALU_DEP_1) | instskip(NEXT) | instid1(VALU_DEP_1)
	v_fmac_f32_e32 v5, v7, v4
	v_fma_f32 v3, -v3, v5, v6
	s_delay_alu instid0(VALU_DEP_1) | instskip(NEXT) | instid1(VALU_DEP_1)
	v_div_fmas_f32 v3, v3, v4, v5
	v_div_fixup_f32 v1, v3, v2, v1
	s_delay_alu instid0(VALU_DEP_1) | instskip(NEXT) | instid1(VALU_DEP_1)
	v_rndne_f32_e32 v1, v1
	v_cmp_nlt_f32_e32 vcc_lo, 0x42fe0000, v1
	v_cndmask_b32_e32 v2, 0x42fe0000, v1, vcc_lo
	v_cmp_ngt_f32_e32 vcc_lo, 0xc3000000, v1
	s_delay_alu instid0(VALU_DEP_2) | instskip(NEXT) | instid1(VALU_DEP_1)
	v_cndmask_b32_e32 v1, 0xc3000000, v2, vcc_lo
	v_cvt_i32_f32_e32 v2, v1
	v_add_co_ci_u32_e64 v1, null, s0, 0, s1
	global_store_b8 v[0:1], v2, off
	s_nop 0
	s_sendmsg sendmsg(MSG_DEALLOC_VGPRS)
	s_endpgm
	.section	.rodata,"a",@progbits
	.p2align	6, 0x0
	.amdhsa_kernel _ZN4vllm35silu_and_mul_per_block_quant_kernelIN3c104HalfEaLb0ELi128EEEvPT0_PfPKT_PKfi
		.amdhsa_group_segment_fixed_size 512
		.amdhsa_private_segment_fixed_size 0
		.amdhsa_kernarg_size 296
		.amdhsa_user_sgpr_count 14
		.amdhsa_user_sgpr_dispatch_ptr 0
		.amdhsa_user_sgpr_queue_ptr 0
		.amdhsa_user_sgpr_kernarg_segment_ptr 1
		.amdhsa_user_sgpr_dispatch_id 0
		.amdhsa_user_sgpr_private_segment_size 0
		.amdhsa_wavefront_size32 1
		.amdhsa_uses_dynamic_stack 0
		.amdhsa_enable_private_segment 0
		.amdhsa_system_sgpr_workgroup_id_x 1
		.amdhsa_system_sgpr_workgroup_id_y 1
		.amdhsa_system_sgpr_workgroup_id_z 0
		.amdhsa_system_sgpr_workgroup_info 0
		.amdhsa_system_vgpr_workitem_id 0
		.amdhsa_next_free_vgpr 9
		.amdhsa_next_free_sgpr 16
		.amdhsa_reserve_vcc 1
		.amdhsa_float_round_mode_32 0
		.amdhsa_float_round_mode_16_64 0
		.amdhsa_float_denorm_mode_32 3
		.amdhsa_float_denorm_mode_16_64 3
		.amdhsa_dx10_clamp 1
		.amdhsa_ieee_mode 1
		.amdhsa_fp16_overflow 0
		.amdhsa_workgroup_processor_mode 1
		.amdhsa_memory_ordered 1
		.amdhsa_forward_progress 0
		.amdhsa_shared_vgpr_count 0
		.amdhsa_exception_fp_ieee_invalid_op 0
		.amdhsa_exception_fp_denorm_src 0
		.amdhsa_exception_fp_ieee_div_zero 0
		.amdhsa_exception_fp_ieee_overflow 0
		.amdhsa_exception_fp_ieee_underflow 0
		.amdhsa_exception_fp_ieee_inexact 0
		.amdhsa_exception_int_div_zero 0
	.end_amdhsa_kernel
	.section	.text._ZN4vllm35silu_and_mul_per_block_quant_kernelIN3c104HalfEaLb0ELi128EEEvPT0_PfPKT_PKfi,"axG",@progbits,_ZN4vllm35silu_and_mul_per_block_quant_kernelIN3c104HalfEaLb0ELi128EEEvPT0_PfPKT_PKfi,comdat
.Lfunc_end21:
	.size	_ZN4vllm35silu_and_mul_per_block_quant_kernelIN3c104HalfEaLb0ELi128EEEvPT0_PfPKT_PKfi, .Lfunc_end21-_ZN4vllm35silu_and_mul_per_block_quant_kernelIN3c104HalfEaLb0ELi128EEEvPT0_PfPKT_PKfi
                                        ; -- End function
	.section	.AMDGPU.csdata,"",@progbits
; Kernel info:
; codeLenInByte = 1424
; NumSgprs: 18
; NumVgprs: 9
; ScratchSize: 0
; MemoryBound: 0
; FloatMode: 240
; IeeeMode: 1
; LDSByteSize: 512 bytes/workgroup (compile time only)
; SGPRBlocks: 2
; VGPRBlocks: 1
; NumSGPRsForWavesPerEU: 18
; NumVGPRsForWavesPerEU: 9
; Occupancy: 16
; WaveLimiterHint : 0
; COMPUTE_PGM_RSRC2:SCRATCH_EN: 0
; COMPUTE_PGM_RSRC2:USER_SGPR: 14
; COMPUTE_PGM_RSRC2:TRAP_HANDLER: 0
; COMPUTE_PGM_RSRC2:TGID_X_EN: 1
; COMPUTE_PGM_RSRC2:TGID_Y_EN: 1
; COMPUTE_PGM_RSRC2:TGID_Z_EN: 0
; COMPUTE_PGM_RSRC2:TIDIG_COMP_CNT: 0
	.section	.text._ZN4vllm35silu_and_mul_per_block_quant_kernelIN3c104HalfEaLb1ELi64EEEvPT0_PfPKT_PKfi,"axG",@progbits,_ZN4vllm35silu_and_mul_per_block_quant_kernelIN3c104HalfEaLb1ELi64EEEvPT0_PfPKT_PKfi,comdat
	.protected	_ZN4vllm35silu_and_mul_per_block_quant_kernelIN3c104HalfEaLb1ELi64EEEvPT0_PfPKT_PKfi ; -- Begin function _ZN4vllm35silu_and_mul_per_block_quant_kernelIN3c104HalfEaLb1ELi64EEEvPT0_PfPKT_PKfi
	.globl	_ZN4vllm35silu_and_mul_per_block_quant_kernelIN3c104HalfEaLb1ELi64EEEvPT0_PfPKT_PKfi
	.p2align	8
	.type	_ZN4vllm35silu_and_mul_per_block_quant_kernelIN3c104HalfEaLb1ELi64EEEvPT0_PfPKT_PKfi,@function
_ZN4vllm35silu_and_mul_per_block_quant_kernelIN3c104HalfEaLb1ELi64EEEvPT0_PfPKT_PKfi: ; @_ZN4vllm35silu_and_mul_per_block_quant_kernelIN3c104HalfEaLb1ELi64EEEvPT0_PfPKT_PKfi
; %bb.0:
	s_clause 0x2
	s_load_b32 s4, s[0:1], 0x20
	s_load_b64 s[8:9], s[0:1], 0x10
	s_load_b32 s3, s[0:1], 0x28
	s_lshl_b32 s6, s15, 6
	v_lshlrev_b32_e32 v1, 1, v0
	s_mov_b32 s2, s15
	s_waitcnt lgkmcnt(0)
	s_mul_i32 s5, s14, s4
	s_delay_alu instid0(SALU_CYCLE_1) | instskip(SKIP_2) | instid1(SALU_CYCLE_1)
	s_lshl_b32 s10, s5, 1
	s_ashr_i32 s5, s4, 31
	s_ashr_i32 s11, s10, 31
	s_lshl_b64 s[10:11], s[10:11], 1
	s_delay_alu instid0(SALU_CYCLE_1) | instskip(SKIP_2) | instid1(SALU_CYCLE_1)
	s_add_u32 s10, s8, s10
	s_addc_u32 s11, s9, s11
	s_ashr_i32 s7, s6, 31
	s_lshl_b64 s[8:9], s[6:7], 1
	s_delay_alu instid0(SALU_CYCLE_1)
	s_add_u32 s8, s10, s8
	s_addc_u32 s9, s11, s9
	s_lshl_b64 s[10:11], s[4:5], 1
	global_load_u16 v2, v1, s[8:9]
	s_add_u32 s8, s8, s10
	s_addc_u32 s9, s9, s11
	s_mov_b32 s5, 0xbfb8aa3b
	s_waitcnt vmcnt(0)
	v_cvt_f32_f16_e32 v3, v2
	s_delay_alu instid0(VALU_DEP_1)
	v_mul_f32_e32 v4, 0xbfb8aa3b, v3
	global_load_u16 v1, v1, s[8:9]
	v_cmp_nlt_f32_e32 vcc_lo, 0x42ce8ed0, v3
	v_fma_mix_f32 v5, v2, s5, -v4 op_sel_hi:[1,0,0]
	v_rndne_f32_e32 v6, v4
	s_mov_b32 s5, 0xb2a5705f
	s_delay_alu instid0(VALU_DEP_2) | instid1(SALU_CYCLE_1)
	v_fma_mix_f32 v2, v2, s5, v5 op_sel_hi:[1,0,0]
	s_delay_alu instid0(VALU_DEP_2) | instskip(SKIP_1) | instid1(VALU_DEP_1)
	v_sub_f32_e32 v4, v4, v6
	s_mov_b32 s5, exec_lo
	v_add_f32_e32 v2, v4, v2
	v_cvt_i32_f32_e32 v4, v6
	s_delay_alu instid0(VALU_DEP_2) | instskip(SKIP_2) | instid1(VALU_DEP_1)
	v_exp_f32_e32 v2, v2
	s_waitcnt_depctr 0xfff
	v_ldexp_f32 v2, v2, v4
	v_cndmask_b32_e32 v2, 0, v2, vcc_lo
	v_cmp_ngt_f32_e32 vcc_lo, 0xc2b17218, v3
	s_delay_alu instid0(VALU_DEP_2) | instskip(NEXT) | instid1(VALU_DEP_1)
	v_cndmask_b32_e32 v2, 0x7f800000, v2, vcc_lo
	v_add_f32_e32 v2, 1.0, v2
	s_delay_alu instid0(VALU_DEP_1) | instskip(SKIP_1) | instid1(VALU_DEP_2)
	v_div_scale_f32 v4, null, v2, v2, 1.0
	v_div_scale_f32 v7, vcc_lo, 1.0, v2, 1.0
	v_rcp_f32_e32 v5, v4
	s_waitcnt_depctr 0xfff
	v_fma_f32 v6, -v4, v5, 1.0
	s_delay_alu instid0(VALU_DEP_1) | instskip(NEXT) | instid1(VALU_DEP_1)
	v_fmac_f32_e32 v5, v6, v5
	v_mul_f32_e32 v6, v7, v5
	s_delay_alu instid0(VALU_DEP_1) | instskip(NEXT) | instid1(VALU_DEP_1)
	v_fma_f32 v8, -v4, v6, v7
	v_fmac_f32_e32 v6, v8, v5
	s_delay_alu instid0(VALU_DEP_1) | instskip(NEXT) | instid1(VALU_DEP_1)
	v_fma_f32 v4, -v4, v6, v7
	v_div_fmas_f32 v4, v4, v5, v6
	s_delay_alu instid0(VALU_DEP_1) | instskip(NEXT) | instid1(VALU_DEP_1)
	v_div_fixup_f32 v2, v4, v2, 1.0
	v_mul_f32_e32 v2, v2, v3
	s_waitcnt vmcnt(0)
	v_cvt_f32_f16_e32 v1, v1
	s_delay_alu instid0(VALU_DEP_1) | instskip(NEXT) | instid1(VALU_DEP_1)
	v_dual_mul_f32 v1, v2, v1 :: v_dual_lshlrev_b32 v2, 2, v0
	v_and_b32_e32 v3, 0x7fffffff, v1
	ds_store_b32 v2, v3
	s_waitcnt lgkmcnt(0)
	s_barrier
	buffer_gl0_inv
	v_cmpx_gt_u32_e32 32, v0
	s_cbranch_execz .LBB22_2
; %bb.1:
	ds_load_2addr_b32 v[3:4], v2 offset1:32
	s_waitcnt lgkmcnt(0)
	v_dual_max_f32 v4, v4, v4 :: v_dual_max_f32 v3, v3, v3
	s_delay_alu instid0(VALU_DEP_1)
	v_max_f32_e32 v3, v3, v4
	ds_store_b32 v2, v3
.LBB22_2:
	s_or_b32 exec_lo, exec_lo, s5
	s_delay_alu instid0(SALU_CYCLE_1)
	s_mov_b32 s5, exec_lo
	s_waitcnt lgkmcnt(0)
	s_barrier
	buffer_gl0_inv
	v_cmpx_gt_u32_e32 16, v0
	s_cbranch_execz .LBB22_4
; %bb.3:
	ds_load_2addr_b32 v[3:4], v2 offset1:16
	s_waitcnt lgkmcnt(0)
	v_dual_max_f32 v4, v4, v4 :: v_dual_max_f32 v3, v3, v3
	s_delay_alu instid0(VALU_DEP_1)
	v_max_f32_e32 v3, v3, v4
	ds_store_b32 v2, v3
.LBB22_4:
	s_or_b32 exec_lo, exec_lo, s5
	s_delay_alu instid0(SALU_CYCLE_1)
	s_mov_b32 s5, exec_lo
	;; [unrolled: 16-line block ×4, first 2 shown]
	s_waitcnt lgkmcnt(0)
	s_barrier
	buffer_gl0_inv
	v_cmpx_gt_u32_e32 2, v0
	s_cbranch_execz .LBB22_10
; %bb.9:
	ds_load_2addr_b32 v[3:4], v2 offset1:2
	s_waitcnt lgkmcnt(0)
	v_dual_max_f32 v4, v4, v4 :: v_dual_max_f32 v3, v3, v3
	s_delay_alu instid0(VALU_DEP_1)
	v_max_f32_e32 v3, v3, v4
	ds_store_b32 v2, v3
.LBB22_10:
	s_or_b32 exec_lo, exec_lo, s5
	v_cmp_eq_u32_e32 vcc_lo, 0, v0
	s_waitcnt lgkmcnt(0)
	s_barrier
	buffer_gl0_inv
	s_and_saveexec_b32 s5, vcc_lo
	s_cbranch_execz .LBB22_12
; %bb.11:
	v_mov_b32_e32 v3, 0
	ds_load_b32 v3, v3 offset:4
	ds_load_b32 v4, v2
	s_waitcnt lgkmcnt(0)
	v_dual_max_f32 v3, v3, v3 :: v_dual_max_f32 v4, v4, v4
	s_delay_alu instid0(VALU_DEP_1)
	v_max_f32_e32 v3, v4, v3
	ds_store_b32 v2, v3
.LBB22_12:
	s_or_b32 exec_lo, exec_lo, s5
	s_load_b64 s[8:9], s[0:1], 0x0
	s_ashr_i32 s15, s14, 31
	s_waitcnt lgkmcnt(0)
	s_barrier
	buffer_gl0_inv
	s_and_saveexec_b32 s5, vcc_lo
	s_cbranch_execz .LBB22_16
; %bb.13:
	v_mov_b32_e32 v2, 0
	ds_load_b32 v3, v2
	s_clause 0x1
	s_load_b64 s[10:11], s[0:1], 0x18
	s_load_b64 s[0:1], s[0:1], 0x8
	s_waitcnt lgkmcnt(0)
	s_cmp_eq_u64 s[10:11], 0
	v_div_scale_f32 v4, null, 0x42fe0000, 0x42fe0000, v3
	s_delay_alu instid0(VALU_DEP_1) | instskip(SKIP_2) | instid1(VALU_DEP_1)
	v_rcp_f32_e32 v5, v4
	s_waitcnt_depctr 0xfff
	v_fma_f32 v6, -v4, v5, 1.0
	v_fmac_f32_e32 v5, v6, v5
	v_div_scale_f32 v6, vcc_lo, v3, 0x42fe0000, v3
	s_delay_alu instid0(VALU_DEP_1) | instskip(NEXT) | instid1(VALU_DEP_1)
	v_mul_f32_e32 v7, v6, v5
	v_fma_f32 v8, -v4, v7, v6
	s_delay_alu instid0(VALU_DEP_1) | instskip(NEXT) | instid1(VALU_DEP_1)
	v_fmac_f32_e32 v7, v8, v5
	v_fma_f32 v4, -v4, v7, v6
	s_delay_alu instid0(VALU_DEP_1) | instskip(NEXT) | instid1(VALU_DEP_1)
	v_div_fmas_f32 v4, v4, v5, v7
	v_div_fixup_f32 v3, v4, 0x42fe0000, v3
	s_cbranch_scc1 .LBB22_15
; %bb.14:
	s_load_b32 s10, s[10:11], 0x0
	s_delay_alu instid0(VALU_DEP_1) | instskip(SKIP_2) | instid1(VALU_DEP_1)
	v_max_f32_e32 v3, v3, v3
	s_waitcnt lgkmcnt(0)
	v_max_f32_e64 v4, s10, s10
	v_min_f32_e32 v3, v3, v4
.LBB22_15:
	s_mul_i32 s2, s3, s2
	s_delay_alu instid0(VALU_DEP_1) | instskip(SKIP_1) | instid1(SALU_CYCLE_1)
	v_max_f32_e32 v3, v3, v3
	s_ashr_i32 s3, s2, 31
	s_lshl_b64 s[2:3], s[2:3], 2
	s_delay_alu instid0(VALU_DEP_1) | instskip(SKIP_3) | instid1(SALU_CYCLE_1)
	v_max_f32_e32 v3, 0x34000000, v3
	s_add_u32 s2, s0, s2
	s_addc_u32 s3, s1, s3
	s_lshl_b64 s[0:1], s[14:15], 2
	s_add_u32 s0, s2, s0
	s_addc_u32 s1, s3, s1
	ds_store_b32 v2, v3
	global_store_b32 v2, v3, s[0:1]
.LBB22_16:
	s_or_b32 exec_lo, exec_lo, s5
	v_mov_b32_e32 v2, 0
	s_waitcnt lgkmcnt(0)
	s_waitcnt_vscnt null, 0x0
	s_barrier
	buffer_gl0_inv
	s_mul_i32 s0, s14, s4
	ds_load_b32 v2, v2
	s_ashr_i32 s1, s0, 31
	s_add_u32 s0, s8, s0
	s_addc_u32 s1, s9, s1
	s_add_u32 s0, s0, s6
	s_addc_u32 s1, s1, s7
	v_add_co_u32 v0, s0, s0, v0
	s_waitcnt lgkmcnt(0)
	v_div_scale_f32 v3, null, v2, v2, v1
	v_div_scale_f32 v6, vcc_lo, v1, v2, v1
	s_delay_alu instid0(VALU_DEP_2) | instskip(SKIP_2) | instid1(VALU_DEP_1)
	v_rcp_f32_e32 v4, v3
	s_waitcnt_depctr 0xfff
	v_fma_f32 v5, -v3, v4, 1.0
	v_fmac_f32_e32 v4, v5, v4
	s_delay_alu instid0(VALU_DEP_1) | instskip(NEXT) | instid1(VALU_DEP_1)
	v_mul_f32_e32 v5, v6, v4
	v_fma_f32 v7, -v3, v5, v6
	s_delay_alu instid0(VALU_DEP_1) | instskip(NEXT) | instid1(VALU_DEP_1)
	v_fmac_f32_e32 v5, v7, v4
	v_fma_f32 v3, -v3, v5, v6
	s_delay_alu instid0(VALU_DEP_1) | instskip(NEXT) | instid1(VALU_DEP_1)
	v_div_fmas_f32 v3, v3, v4, v5
	v_div_fixup_f32 v1, v3, v2, v1
	s_delay_alu instid0(VALU_DEP_1) | instskip(NEXT) | instid1(VALU_DEP_1)
	v_rndne_f32_e32 v1, v1
	v_cmp_nlt_f32_e32 vcc_lo, 0x42fe0000, v1
	v_cndmask_b32_e32 v2, 0x42fe0000, v1, vcc_lo
	v_cmp_ngt_f32_e32 vcc_lo, 0xc3000000, v1
	s_delay_alu instid0(VALU_DEP_2) | instskip(NEXT) | instid1(VALU_DEP_1)
	v_cndmask_b32_e32 v1, 0xc3000000, v2, vcc_lo
	v_cvt_i32_f32_e32 v2, v1
	v_add_co_ci_u32_e64 v1, null, s1, 0, s0
	global_store_b8 v[0:1], v2, off
	s_nop 0
	s_sendmsg sendmsg(MSG_DEALLOC_VGPRS)
	s_endpgm
	.section	.rodata,"a",@progbits
	.p2align	6, 0x0
	.amdhsa_kernel _ZN4vllm35silu_and_mul_per_block_quant_kernelIN3c104HalfEaLb1ELi64EEEvPT0_PfPKT_PKfi
		.amdhsa_group_segment_fixed_size 256
		.amdhsa_private_segment_fixed_size 0
		.amdhsa_kernarg_size 296
		.amdhsa_user_sgpr_count 14
		.amdhsa_user_sgpr_dispatch_ptr 0
		.amdhsa_user_sgpr_queue_ptr 0
		.amdhsa_user_sgpr_kernarg_segment_ptr 1
		.amdhsa_user_sgpr_dispatch_id 0
		.amdhsa_user_sgpr_private_segment_size 0
		.amdhsa_wavefront_size32 1
		.amdhsa_uses_dynamic_stack 0
		.amdhsa_enable_private_segment 0
		.amdhsa_system_sgpr_workgroup_id_x 1
		.amdhsa_system_sgpr_workgroup_id_y 1
		.amdhsa_system_sgpr_workgroup_id_z 0
		.amdhsa_system_sgpr_workgroup_info 0
		.amdhsa_system_vgpr_workitem_id 0
		.amdhsa_next_free_vgpr 9
		.amdhsa_next_free_sgpr 16
		.amdhsa_reserve_vcc 1
		.amdhsa_float_round_mode_32 0
		.amdhsa_float_round_mode_16_64 0
		.amdhsa_float_denorm_mode_32 3
		.amdhsa_float_denorm_mode_16_64 3
		.amdhsa_dx10_clamp 1
		.amdhsa_ieee_mode 1
		.amdhsa_fp16_overflow 0
		.amdhsa_workgroup_processor_mode 1
		.amdhsa_memory_ordered 1
		.amdhsa_forward_progress 0
		.amdhsa_shared_vgpr_count 0
		.amdhsa_exception_fp_ieee_invalid_op 0
		.amdhsa_exception_fp_denorm_src 0
		.amdhsa_exception_fp_ieee_div_zero 0
		.amdhsa_exception_fp_ieee_overflow 0
		.amdhsa_exception_fp_ieee_underflow 0
		.amdhsa_exception_fp_ieee_inexact 0
		.amdhsa_exception_int_div_zero 0
	.end_amdhsa_kernel
	.section	.text._ZN4vllm35silu_and_mul_per_block_quant_kernelIN3c104HalfEaLb1ELi64EEEvPT0_PfPKT_PKfi,"axG",@progbits,_ZN4vllm35silu_and_mul_per_block_quant_kernelIN3c104HalfEaLb1ELi64EEEvPT0_PfPKT_PKfi,comdat
.Lfunc_end22:
	.size	_ZN4vllm35silu_and_mul_per_block_quant_kernelIN3c104HalfEaLb1ELi64EEEvPT0_PfPKT_PKfi, .Lfunc_end22-_ZN4vllm35silu_and_mul_per_block_quant_kernelIN3c104HalfEaLb1ELi64EEEvPT0_PfPKT_PKfi
                                        ; -- End function
	.section	.AMDGPU.csdata,"",@progbits
; Kernel info:
; codeLenInByte = 1356
; NumSgprs: 18
; NumVgprs: 9
; ScratchSize: 0
; MemoryBound: 0
; FloatMode: 240
; IeeeMode: 1
; LDSByteSize: 256 bytes/workgroup (compile time only)
; SGPRBlocks: 2
; VGPRBlocks: 1
; NumSGPRsForWavesPerEU: 18
; NumVGPRsForWavesPerEU: 9
; Occupancy: 16
; WaveLimiterHint : 0
; COMPUTE_PGM_RSRC2:SCRATCH_EN: 0
; COMPUTE_PGM_RSRC2:USER_SGPR: 14
; COMPUTE_PGM_RSRC2:TRAP_HANDLER: 0
; COMPUTE_PGM_RSRC2:TGID_X_EN: 1
; COMPUTE_PGM_RSRC2:TGID_Y_EN: 1
; COMPUTE_PGM_RSRC2:TGID_Z_EN: 0
; COMPUTE_PGM_RSRC2:TIDIG_COMP_CNT: 0
	.section	.text._ZN4vllm35silu_and_mul_per_block_quant_kernelIN3c104HalfEaLb0ELi64EEEvPT0_PfPKT_PKfi,"axG",@progbits,_ZN4vllm35silu_and_mul_per_block_quant_kernelIN3c104HalfEaLb0ELi64EEEvPT0_PfPKT_PKfi,comdat
	.protected	_ZN4vllm35silu_and_mul_per_block_quant_kernelIN3c104HalfEaLb0ELi64EEEvPT0_PfPKT_PKfi ; -- Begin function _ZN4vllm35silu_and_mul_per_block_quant_kernelIN3c104HalfEaLb0ELi64EEEvPT0_PfPKT_PKfi
	.globl	_ZN4vllm35silu_and_mul_per_block_quant_kernelIN3c104HalfEaLb0ELi64EEEvPT0_PfPKT_PKfi
	.p2align	8
	.type	_ZN4vllm35silu_and_mul_per_block_quant_kernelIN3c104HalfEaLb0ELi64EEEvPT0_PfPKT_PKfi,@function
_ZN4vllm35silu_and_mul_per_block_quant_kernelIN3c104HalfEaLb0ELi64EEEvPT0_PfPKT_PKfi: ; @_ZN4vllm35silu_and_mul_per_block_quant_kernelIN3c104HalfEaLb0ELi64EEEvPT0_PfPKT_PKfi
; %bb.0:
	s_clause 0x2
	s_load_b32 s6, s[0:1], 0x20
	s_load_b64 s[8:9], s[0:1], 0x10
	s_load_b32 s5, s[0:1], 0x2c
	s_lshl_b32 s2, s15, 6
	v_lshlrev_b32_e32 v1, 1, v0
	s_mov_b32 s4, s15
	s_waitcnt lgkmcnt(0)
	s_mul_i32 s10, s14, s6
	s_ashr_i32 s7, s6, 31
	s_lshl_b32 s12, s10, 1
	s_delay_alu instid0(SALU_CYCLE_1) | instskip(NEXT) | instid1(SALU_CYCLE_1)
	s_ashr_i32 s13, s12, 31
	s_lshl_b64 s[12:13], s[12:13], 1
	s_delay_alu instid0(SALU_CYCLE_1) | instskip(SKIP_2) | instid1(SALU_CYCLE_1)
	s_add_u32 s11, s8, s12
	s_addc_u32 s12, s9, s13
	s_ashr_i32 s3, s2, 31
	s_lshl_b64 s[8:9], s[2:3], 1
	s_delay_alu instid0(SALU_CYCLE_1)
	s_add_u32 s8, s11, s8
	s_addc_u32 s9, s12, s9
	s_lshl_b64 s[6:7], s[6:7], 1
	global_load_u16 v2, v1, s[8:9]
	s_add_u32 s6, s8, s6
	s_addc_u32 s7, s9, s7
	s_waitcnt vmcnt(0)
	v_cvt_f32_f16_e32 v3, v2
	s_delay_alu instid0(VALU_DEP_1)
	v_mul_f32_e32 v4, 0xbfb8aa3b, v3
	global_load_u16 v1, v1, s[6:7]
	s_mov_b32 s6, 0xbfb8aa3b
	v_cmp_nlt_f32_e32 vcc_lo, 0x42ce8ed0, v3
	v_fma_mix_f32 v5, v2, s6, -v4 op_sel_hi:[1,0,0]
	v_rndne_f32_e32 v6, v4
	s_mov_b32 s6, 0xb2a5705f
	s_delay_alu instid0(VALU_DEP_2) | instid1(SALU_CYCLE_1)
	v_fma_mix_f32 v2, v2, s6, v5 op_sel_hi:[1,0,0]
	s_delay_alu instid0(VALU_DEP_2) | instskip(SKIP_1) | instid1(VALU_DEP_1)
	v_sub_f32_e32 v4, v4, v6
	s_mov_b32 s6, exec_lo
	v_add_f32_e32 v2, v4, v2
	v_cvt_i32_f32_e32 v4, v6
	s_delay_alu instid0(VALU_DEP_2) | instskip(SKIP_2) | instid1(VALU_DEP_1)
	v_exp_f32_e32 v2, v2
	s_waitcnt_depctr 0xfff
	v_ldexp_f32 v2, v2, v4
	v_cndmask_b32_e32 v2, 0, v2, vcc_lo
	v_cmp_ngt_f32_e32 vcc_lo, 0xc2b17218, v3
	s_delay_alu instid0(VALU_DEP_2) | instskip(NEXT) | instid1(VALU_DEP_1)
	v_cndmask_b32_e32 v2, 0x7f800000, v2, vcc_lo
	v_add_f32_e32 v2, 1.0, v2
	s_delay_alu instid0(VALU_DEP_1) | instskip(SKIP_1) | instid1(VALU_DEP_2)
	v_div_scale_f32 v4, null, v2, v2, 1.0
	v_div_scale_f32 v7, vcc_lo, 1.0, v2, 1.0
	v_rcp_f32_e32 v5, v4
	s_waitcnt_depctr 0xfff
	v_fma_f32 v6, -v4, v5, 1.0
	s_delay_alu instid0(VALU_DEP_1) | instskip(NEXT) | instid1(VALU_DEP_1)
	v_fmac_f32_e32 v5, v6, v5
	v_mul_f32_e32 v6, v7, v5
	s_delay_alu instid0(VALU_DEP_1) | instskip(NEXT) | instid1(VALU_DEP_1)
	v_fma_f32 v8, -v4, v6, v7
	v_fmac_f32_e32 v6, v8, v5
	s_delay_alu instid0(VALU_DEP_1) | instskip(NEXT) | instid1(VALU_DEP_1)
	v_fma_f32 v4, -v4, v6, v7
	v_div_fmas_f32 v4, v4, v5, v6
	s_delay_alu instid0(VALU_DEP_1) | instskip(NEXT) | instid1(VALU_DEP_1)
	v_div_fixup_f32 v2, v4, v2, 1.0
	v_mul_f32_e32 v2, v2, v3
	s_waitcnt vmcnt(0)
	v_cvt_f32_f16_e32 v1, v1
	s_delay_alu instid0(VALU_DEP_1) | instskip(NEXT) | instid1(VALU_DEP_1)
	v_dual_mul_f32 v1, v2, v1 :: v_dual_lshlrev_b32 v2, 2, v0
	v_and_b32_e32 v3, 0x7fffffff, v1
	ds_store_b32 v2, v3
	s_waitcnt lgkmcnt(0)
	s_barrier
	buffer_gl0_inv
	v_cmpx_gt_u32_e32 32, v0
	s_cbranch_execz .LBB23_2
; %bb.1:
	ds_load_2addr_b32 v[3:4], v2 offset1:32
	s_waitcnt lgkmcnt(0)
	v_dual_max_f32 v4, v4, v4 :: v_dual_max_f32 v3, v3, v3
	s_delay_alu instid0(VALU_DEP_1)
	v_max_f32_e32 v3, v3, v4
	ds_store_b32 v2, v3
.LBB23_2:
	s_or_b32 exec_lo, exec_lo, s6
	s_delay_alu instid0(SALU_CYCLE_1)
	s_mov_b32 s6, exec_lo
	s_waitcnt lgkmcnt(0)
	s_barrier
	buffer_gl0_inv
	v_cmpx_gt_u32_e32 16, v0
	s_cbranch_execz .LBB23_4
; %bb.3:
	ds_load_2addr_b32 v[3:4], v2 offset1:16
	s_waitcnt lgkmcnt(0)
	v_dual_max_f32 v4, v4, v4 :: v_dual_max_f32 v3, v3, v3
	s_delay_alu instid0(VALU_DEP_1)
	v_max_f32_e32 v3, v3, v4
	ds_store_b32 v2, v3
.LBB23_4:
	s_or_b32 exec_lo, exec_lo, s6
	s_delay_alu instid0(SALU_CYCLE_1)
	s_mov_b32 s6, exec_lo
	;; [unrolled: 16-line block ×4, first 2 shown]
	s_waitcnt lgkmcnt(0)
	s_barrier
	buffer_gl0_inv
	v_cmpx_gt_u32_e32 2, v0
	s_cbranch_execz .LBB23_10
; %bb.9:
	ds_load_2addr_b32 v[3:4], v2 offset1:2
	s_waitcnt lgkmcnt(0)
	v_dual_max_f32 v4, v4, v4 :: v_dual_max_f32 v3, v3, v3
	s_delay_alu instid0(VALU_DEP_1)
	v_max_f32_e32 v3, v3, v4
	ds_store_b32 v2, v3
.LBB23_10:
	s_or_b32 exec_lo, exec_lo, s6
	v_cmp_eq_u32_e32 vcc_lo, 0, v0
	s_waitcnt lgkmcnt(0)
	s_barrier
	buffer_gl0_inv
	s_and_saveexec_b32 s6, vcc_lo
	s_cbranch_execz .LBB23_12
; %bb.11:
	v_mov_b32_e32 v3, 0
	ds_load_b32 v3, v3 offset:4
	ds_load_b32 v4, v2
	s_waitcnt lgkmcnt(0)
	v_dual_max_f32 v3, v3, v3 :: v_dual_max_f32 v4, v4, v4
	s_delay_alu instid0(VALU_DEP_1)
	v_max_f32_e32 v3, v4, v3
	ds_store_b32 v2, v3
.LBB23_12:
	s_or_b32 exec_lo, exec_lo, s6
	s_load_b64 s[6:7], s[0:1], 0x0
	s_waitcnt lgkmcnt(0)
	s_barrier
	buffer_gl0_inv
	s_and_saveexec_b32 s11, vcc_lo
	s_cbranch_execz .LBB23_16
; %bb.13:
	v_mov_b32_e32 v2, 0
	ds_load_b32 v3, v2
	s_clause 0x1
	s_load_b64 s[8:9], s[0:1], 0x18
	s_load_b64 s[0:1], s[0:1], 0x8
	s_waitcnt lgkmcnt(0)
	s_cmp_eq_u64 s[8:9], 0
	v_div_scale_f32 v4, null, 0x42fe0000, 0x42fe0000, v3
	s_delay_alu instid0(VALU_DEP_1) | instskip(SKIP_2) | instid1(VALU_DEP_1)
	v_rcp_f32_e32 v5, v4
	s_waitcnt_depctr 0xfff
	v_fma_f32 v6, -v4, v5, 1.0
	v_fmac_f32_e32 v5, v6, v5
	v_div_scale_f32 v6, vcc_lo, v3, 0x42fe0000, v3
	s_delay_alu instid0(VALU_DEP_1) | instskip(NEXT) | instid1(VALU_DEP_1)
	v_mul_f32_e32 v7, v6, v5
	v_fma_f32 v8, -v4, v7, v6
	s_delay_alu instid0(VALU_DEP_1) | instskip(NEXT) | instid1(VALU_DEP_1)
	v_fmac_f32_e32 v7, v8, v5
	v_fma_f32 v4, -v4, v7, v6
	s_delay_alu instid0(VALU_DEP_1) | instskip(NEXT) | instid1(VALU_DEP_1)
	v_div_fmas_f32 v4, v4, v5, v7
	v_div_fixup_f32 v3, v4, 0x42fe0000, v3
	s_cbranch_scc1 .LBB23_15
; %bb.14:
	s_load_b32 s8, s[8:9], 0x0
	s_delay_alu instid0(VALU_DEP_1) | instskip(SKIP_2) | instid1(VALU_DEP_1)
	v_max_f32_e32 v3, v3, v3
	s_waitcnt lgkmcnt(0)
	v_max_f32_e64 v4, s8, s8
	v_min_f32_e32 v3, v3, v4
.LBB23_15:
	s_mul_i32 s8, s5, s14
	s_delay_alu instid0(VALU_DEP_1) | instskip(SKIP_3) | instid1(VALU_DEP_1)
	v_max_f32_e32 v3, v3, v3
	s_ashr_i32 s9, s8, 31
	s_ashr_i32 s5, s4, 31
	s_lshl_b64 s[8:9], s[8:9], 2
	v_max_f32_e32 v3, 0x34000000, v3
	s_add_u32 s8, s0, s8
	s_addc_u32 s9, s1, s9
	s_lshl_b64 s[0:1], s[4:5], 2
	s_delay_alu instid0(SALU_CYCLE_1)
	s_add_u32 s0, s8, s0
	s_addc_u32 s1, s9, s1
	ds_store_b32 v2, v3
	global_store_b32 v2, v3, s[0:1]
.LBB23_16:
	s_or_b32 exec_lo, exec_lo, s11
	v_mov_b32_e32 v2, 0
	s_waitcnt lgkmcnt(0)
	s_waitcnt_vscnt null, 0x0
	s_barrier
	buffer_gl0_inv
	s_ashr_i32 s0, s10, 31
	ds_load_b32 v2, v2
	s_add_u32 s1, s6, s10
	s_addc_u32 s0, s7, s0
	s_add_u32 s1, s1, s2
	s_addc_u32 s0, s0, s3
	v_add_co_u32 v0, s1, s1, v0
	s_waitcnt lgkmcnt(0)
	v_div_scale_f32 v3, null, v2, v2, v1
	v_div_scale_f32 v6, vcc_lo, v1, v2, v1
	s_delay_alu instid0(VALU_DEP_2) | instskip(SKIP_2) | instid1(VALU_DEP_1)
	v_rcp_f32_e32 v4, v3
	s_waitcnt_depctr 0xfff
	v_fma_f32 v5, -v3, v4, 1.0
	v_fmac_f32_e32 v4, v5, v4
	s_delay_alu instid0(VALU_DEP_1) | instskip(NEXT) | instid1(VALU_DEP_1)
	v_mul_f32_e32 v5, v6, v4
	v_fma_f32 v7, -v3, v5, v6
	s_delay_alu instid0(VALU_DEP_1) | instskip(NEXT) | instid1(VALU_DEP_1)
	v_fmac_f32_e32 v5, v7, v4
	v_fma_f32 v3, -v3, v5, v6
	s_delay_alu instid0(VALU_DEP_1) | instskip(NEXT) | instid1(VALU_DEP_1)
	v_div_fmas_f32 v3, v3, v4, v5
	v_div_fixup_f32 v1, v3, v2, v1
	s_delay_alu instid0(VALU_DEP_1) | instskip(NEXT) | instid1(VALU_DEP_1)
	v_rndne_f32_e32 v1, v1
	v_cmp_nlt_f32_e32 vcc_lo, 0x42fe0000, v1
	v_cndmask_b32_e32 v2, 0x42fe0000, v1, vcc_lo
	v_cmp_ngt_f32_e32 vcc_lo, 0xc3000000, v1
	s_delay_alu instid0(VALU_DEP_2) | instskip(NEXT) | instid1(VALU_DEP_1)
	v_cndmask_b32_e32 v1, 0xc3000000, v2, vcc_lo
	v_cvt_i32_f32_e32 v2, v1
	v_add_co_ci_u32_e64 v1, null, s0, 0, s1
	global_store_b8 v[0:1], v2, off
	s_nop 0
	s_sendmsg sendmsg(MSG_DEALLOC_VGPRS)
	s_endpgm
	.section	.rodata,"a",@progbits
	.p2align	6, 0x0
	.amdhsa_kernel _ZN4vllm35silu_and_mul_per_block_quant_kernelIN3c104HalfEaLb0ELi64EEEvPT0_PfPKT_PKfi
		.amdhsa_group_segment_fixed_size 256
		.amdhsa_private_segment_fixed_size 0
		.amdhsa_kernarg_size 296
		.amdhsa_user_sgpr_count 14
		.amdhsa_user_sgpr_dispatch_ptr 0
		.amdhsa_user_sgpr_queue_ptr 0
		.amdhsa_user_sgpr_kernarg_segment_ptr 1
		.amdhsa_user_sgpr_dispatch_id 0
		.amdhsa_user_sgpr_private_segment_size 0
		.amdhsa_wavefront_size32 1
		.amdhsa_uses_dynamic_stack 0
		.amdhsa_enable_private_segment 0
		.amdhsa_system_sgpr_workgroup_id_x 1
		.amdhsa_system_sgpr_workgroup_id_y 1
		.amdhsa_system_sgpr_workgroup_id_z 0
		.amdhsa_system_sgpr_workgroup_info 0
		.amdhsa_system_vgpr_workitem_id 0
		.amdhsa_next_free_vgpr 9
		.amdhsa_next_free_sgpr 16
		.amdhsa_reserve_vcc 1
		.amdhsa_float_round_mode_32 0
		.amdhsa_float_round_mode_16_64 0
		.amdhsa_float_denorm_mode_32 3
		.amdhsa_float_denorm_mode_16_64 3
		.amdhsa_dx10_clamp 1
		.amdhsa_ieee_mode 1
		.amdhsa_fp16_overflow 0
		.amdhsa_workgroup_processor_mode 1
		.amdhsa_memory_ordered 1
		.amdhsa_forward_progress 0
		.amdhsa_shared_vgpr_count 0
		.amdhsa_exception_fp_ieee_invalid_op 0
		.amdhsa_exception_fp_denorm_src 0
		.amdhsa_exception_fp_ieee_div_zero 0
		.amdhsa_exception_fp_ieee_overflow 0
		.amdhsa_exception_fp_ieee_underflow 0
		.amdhsa_exception_fp_ieee_inexact 0
		.amdhsa_exception_int_div_zero 0
	.end_amdhsa_kernel
	.section	.text._ZN4vllm35silu_and_mul_per_block_quant_kernelIN3c104HalfEaLb0ELi64EEEvPT0_PfPKT_PKfi,"axG",@progbits,_ZN4vllm35silu_and_mul_per_block_quant_kernelIN3c104HalfEaLb0ELi64EEEvPT0_PfPKT_PKfi,comdat
.Lfunc_end23:
	.size	_ZN4vllm35silu_and_mul_per_block_quant_kernelIN3c104HalfEaLb0ELi64EEEvPT0_PfPKT_PKfi, .Lfunc_end23-_ZN4vllm35silu_and_mul_per_block_quant_kernelIN3c104HalfEaLb0ELi64EEEvPT0_PfPKT_PKfi
                                        ; -- End function
	.section	.AMDGPU.csdata,"",@progbits
; Kernel info:
; codeLenInByte = 1352
; NumSgprs: 18
; NumVgprs: 9
; ScratchSize: 0
; MemoryBound: 0
; FloatMode: 240
; IeeeMode: 1
; LDSByteSize: 256 bytes/workgroup (compile time only)
; SGPRBlocks: 2
; VGPRBlocks: 1
; NumSGPRsForWavesPerEU: 18
; NumVGPRsForWavesPerEU: 9
; Occupancy: 16
; WaveLimiterHint : 0
; COMPUTE_PGM_RSRC2:SCRATCH_EN: 0
; COMPUTE_PGM_RSRC2:USER_SGPR: 14
; COMPUTE_PGM_RSRC2:TRAP_HANDLER: 0
; COMPUTE_PGM_RSRC2:TGID_X_EN: 1
; COMPUTE_PGM_RSRC2:TGID_Y_EN: 1
; COMPUTE_PGM_RSRC2:TGID_Z_EN: 0
; COMPUTE_PGM_RSRC2:TIDIG_COMP_CNT: 0
	.section	.text._ZN4vllm35silu_and_mul_per_block_quant_kernelIN3c108BFloat16ENS1_13Float8_e4m3fnELb1ELi128EEEvPT0_PfPKT_PKfi,"axG",@progbits,_ZN4vllm35silu_and_mul_per_block_quant_kernelIN3c108BFloat16ENS1_13Float8_e4m3fnELb1ELi128EEEvPT0_PfPKT_PKfi,comdat
	.protected	_ZN4vllm35silu_and_mul_per_block_quant_kernelIN3c108BFloat16ENS1_13Float8_e4m3fnELb1ELi128EEEvPT0_PfPKT_PKfi ; -- Begin function _ZN4vllm35silu_and_mul_per_block_quant_kernelIN3c108BFloat16ENS1_13Float8_e4m3fnELb1ELi128EEEvPT0_PfPKT_PKfi
	.globl	_ZN4vllm35silu_and_mul_per_block_quant_kernelIN3c108BFloat16ENS1_13Float8_e4m3fnELb1ELi128EEEvPT0_PfPKT_PKfi
	.p2align	8
	.type	_ZN4vllm35silu_and_mul_per_block_quant_kernelIN3c108BFloat16ENS1_13Float8_e4m3fnELb1ELi128EEEvPT0_PfPKT_PKfi,@function
_ZN4vllm35silu_and_mul_per_block_quant_kernelIN3c108BFloat16ENS1_13Float8_e4m3fnELb1ELi128EEEvPT0_PfPKT_PKfi: ; @_ZN4vllm35silu_and_mul_per_block_quant_kernelIN3c108BFloat16ENS1_13Float8_e4m3fnELb1ELi128EEEvPT0_PfPKT_PKfi
; %bb.0:
	s_clause 0x2
	s_load_b32 s6, s[0:1], 0x20
	s_load_b64 s[8:9], s[0:1], 0x10
	s_load_b32 s3, s[0:1], 0x28
	v_lshlrev_b32_e32 v1, 1, v0
	s_mov_b32 s2, s15
	s_waitcnt lgkmcnt(0)
	s_mul_i32 s4, s14, s6
	s_ashr_i32 s7, s6, 31
	s_lshl_b32 s10, s4, 1
	s_lshl_b32 s4, s15, 7
	s_ashr_i32 s11, s10, 31
	s_delay_alu instid0(SALU_CYCLE_1) | instskip(NEXT) | instid1(SALU_CYCLE_1)
	s_lshl_b64 s[10:11], s[10:11], 1
	s_add_u32 s10, s8, s10
	s_addc_u32 s11, s9, s11
	s_ashr_i32 s5, s4, 31
	s_delay_alu instid0(SALU_CYCLE_1) | instskip(NEXT) | instid1(SALU_CYCLE_1)
	s_lshl_b64 s[8:9], s[4:5], 1
	s_add_u32 s8, s10, s8
	s_addc_u32 s9, s11, s9
	s_lshl_b64 s[10:11], s[6:7], 1
	global_load_u16 v2, v1, s[8:9]
	s_add_u32 s8, s8, s10
	s_addc_u32 s9, s9, s11
	s_mov_b32 s7, exec_lo
	s_waitcnt vmcnt(0)
	v_lshlrev_b32_e32 v2, 16, v2
	s_delay_alu instid0(VALU_DEP_1) | instskip(NEXT) | instid1(VALU_DEP_1)
	v_mul_f32_e32 v3, 0xbfb8aa3b, v2
	v_fma_f32 v4, 0xbfb8aa3b, v2, -v3
	v_rndne_f32_e32 v5, v3
	s_delay_alu instid0(VALU_DEP_1) | instskip(SKIP_4) | instid1(VALU_DEP_2)
	v_dual_sub_f32 v3, v3, v5 :: v_dual_fmamk_f32 v4, v2, 0xb2a5705f, v4
	global_load_u16 v1, v1, s[8:9]
	v_cmp_nlt_f32_e32 vcc_lo, 0x42ce8ed0, v2
	v_add_f32_e32 v3, v3, v4
	v_cvt_i32_f32_e32 v4, v5
	v_exp_f32_e32 v3, v3
	s_waitcnt_depctr 0xfff
	v_ldexp_f32 v3, v3, v4
	s_delay_alu instid0(VALU_DEP_1) | instskip(SKIP_1) | instid1(VALU_DEP_2)
	v_cndmask_b32_e32 v3, 0, v3, vcc_lo
	v_cmp_ngt_f32_e32 vcc_lo, 0xc2b17218, v2
	v_cndmask_b32_e32 v3, 0x7f800000, v3, vcc_lo
	s_delay_alu instid0(VALU_DEP_1) | instskip(NEXT) | instid1(VALU_DEP_1)
	v_add_f32_e32 v3, 1.0, v3
	v_div_scale_f32 v4, null, v3, v3, 1.0
	v_div_scale_f32 v7, vcc_lo, 1.0, v3, 1.0
	s_delay_alu instid0(VALU_DEP_2) | instskip(SKIP_2) | instid1(VALU_DEP_1)
	v_rcp_f32_e32 v5, v4
	s_waitcnt_depctr 0xfff
	v_fma_f32 v6, -v4, v5, 1.0
	v_fmac_f32_e32 v5, v6, v5
	s_delay_alu instid0(VALU_DEP_1) | instskip(NEXT) | instid1(VALU_DEP_1)
	v_mul_f32_e32 v6, v7, v5
	v_fma_f32 v8, -v4, v6, v7
	s_delay_alu instid0(VALU_DEP_1) | instskip(NEXT) | instid1(VALU_DEP_1)
	v_fmac_f32_e32 v6, v8, v5
	v_fma_f32 v4, -v4, v6, v7
	s_delay_alu instid0(VALU_DEP_1) | instskip(NEXT) | instid1(VALU_DEP_1)
	v_div_fmas_f32 v4, v4, v5, v6
	v_div_fixup_f32 v3, v4, v3, 1.0
	s_waitcnt vmcnt(0)
	s_delay_alu instid0(VALU_DEP_1) | instskip(NEXT) | instid1(VALU_DEP_1)
	v_dual_mul_f32 v2, v3, v2 :: v_dual_lshlrev_b32 v1, 16, v1
	v_dual_mul_f32 v1, v2, v1 :: v_dual_lshlrev_b32 v2, 2, v0
	s_delay_alu instid0(VALU_DEP_1)
	v_and_b32_e32 v3, 0x7fffffff, v1
	ds_store_b32 v2, v3
	s_waitcnt lgkmcnt(0)
	s_barrier
	buffer_gl0_inv
	v_cmpx_gt_u32_e32 64, v0
	s_cbranch_execz .LBB24_2
; %bb.1:
	ds_load_2addr_stride64_b32 v[3:4], v2 offset1:1
	s_waitcnt lgkmcnt(0)
	v_dual_max_f32 v4, v4, v4 :: v_dual_max_f32 v3, v3, v3
	s_delay_alu instid0(VALU_DEP_1)
	v_max_f32_e32 v3, v3, v4
	ds_store_b32 v2, v3
.LBB24_2:
	s_or_b32 exec_lo, exec_lo, s7
	s_delay_alu instid0(SALU_CYCLE_1)
	s_mov_b32 s7, exec_lo
	s_waitcnt lgkmcnt(0)
	s_barrier
	buffer_gl0_inv
	v_cmpx_gt_u32_e32 32, v0
	s_cbranch_execz .LBB24_4
; %bb.3:
	ds_load_2addr_b32 v[3:4], v2 offset1:32
	s_waitcnt lgkmcnt(0)
	v_dual_max_f32 v4, v4, v4 :: v_dual_max_f32 v3, v3, v3
	s_delay_alu instid0(VALU_DEP_1)
	v_max_f32_e32 v3, v3, v4
	ds_store_b32 v2, v3
.LBB24_4:
	s_or_b32 exec_lo, exec_lo, s7
	s_delay_alu instid0(SALU_CYCLE_1)
	s_mov_b32 s7, exec_lo
	s_waitcnt lgkmcnt(0)
	s_barrier
	buffer_gl0_inv
	v_cmpx_gt_u32_e32 16, v0
	s_cbranch_execz .LBB24_6
; %bb.5:
	ds_load_2addr_b32 v[3:4], v2 offset1:16
	s_waitcnt lgkmcnt(0)
	v_dual_max_f32 v4, v4, v4 :: v_dual_max_f32 v3, v3, v3
	s_delay_alu instid0(VALU_DEP_1)
	v_max_f32_e32 v3, v3, v4
	ds_store_b32 v2, v3
.LBB24_6:
	;; [unrolled: 16-line block ×5, first 2 shown]
	s_or_b32 exec_lo, exec_lo, s7
	v_cmp_eq_u32_e32 vcc_lo, 0, v0
	s_waitcnt lgkmcnt(0)
	s_barrier
	buffer_gl0_inv
	s_and_saveexec_b32 s7, vcc_lo
	s_cbranch_execz .LBB24_14
; %bb.13:
	v_mov_b32_e32 v3, 0
	ds_load_b32 v3, v3 offset:4
	ds_load_b32 v4, v2
	s_waitcnt lgkmcnt(0)
	v_dual_max_f32 v3, v3, v3 :: v_dual_max_f32 v4, v4, v4
	s_delay_alu instid0(VALU_DEP_1)
	v_max_f32_e32 v3, v4, v3
	ds_store_b32 v2, v3
.LBB24_14:
	s_or_b32 exec_lo, exec_lo, s7
	s_load_b64 s[8:9], s[0:1], 0x0
	s_ashr_i32 s15, s14, 31
	s_waitcnt lgkmcnt(0)
	s_barrier
	buffer_gl0_inv
	s_and_saveexec_b32 s7, vcc_lo
	s_cbranch_execz .LBB24_18
; %bb.15:
	v_mov_b32_e32 v2, 0
	ds_load_b32 v3, v2
	s_clause 0x1
	s_load_b64 s[10:11], s[0:1], 0x18
	s_load_b64 s[0:1], s[0:1], 0x8
	s_waitcnt lgkmcnt(0)
	s_cmp_eq_u64 s[10:11], 0
	v_div_scale_f32 v4, null, 0x43e00000, 0x43e00000, v3
	s_delay_alu instid0(VALU_DEP_1) | instskip(SKIP_2) | instid1(VALU_DEP_1)
	v_rcp_f32_e32 v5, v4
	s_waitcnt_depctr 0xfff
	v_fma_f32 v6, -v4, v5, 1.0
	v_fmac_f32_e32 v5, v6, v5
	v_div_scale_f32 v6, vcc_lo, v3, 0x43e00000, v3
	s_delay_alu instid0(VALU_DEP_1) | instskip(NEXT) | instid1(VALU_DEP_1)
	v_mul_f32_e32 v7, v6, v5
	v_fma_f32 v8, -v4, v7, v6
	s_delay_alu instid0(VALU_DEP_1) | instskip(NEXT) | instid1(VALU_DEP_1)
	v_fmac_f32_e32 v7, v8, v5
	v_fma_f32 v4, -v4, v7, v6
	s_delay_alu instid0(VALU_DEP_1) | instskip(NEXT) | instid1(VALU_DEP_1)
	v_div_fmas_f32 v4, v4, v5, v7
	v_div_fixup_f32 v3, v4, 0x43e00000, v3
	s_cbranch_scc1 .LBB24_17
; %bb.16:
	s_load_b32 s10, s[10:11], 0x0
	s_delay_alu instid0(VALU_DEP_1) | instskip(SKIP_2) | instid1(VALU_DEP_1)
	v_max_f32_e32 v3, v3, v3
	s_waitcnt lgkmcnt(0)
	v_max_f32_e64 v4, s10, s10
	v_min_f32_e32 v3, v3, v4
.LBB24_17:
	s_mul_i32 s2, s3, s2
	s_delay_alu instid0(VALU_DEP_1) | instskip(SKIP_1) | instid1(SALU_CYCLE_1)
	v_max_f32_e32 v3, v3, v3
	s_ashr_i32 s3, s2, 31
	s_lshl_b64 s[2:3], s[2:3], 2
	s_delay_alu instid0(VALU_DEP_1) | instskip(SKIP_3) | instid1(SALU_CYCLE_1)
	v_max_f32_e32 v3, 0x36924925, v3
	s_add_u32 s2, s0, s2
	s_addc_u32 s3, s1, s3
	s_lshl_b64 s[0:1], s[14:15], 2
	s_add_u32 s0, s2, s0
	s_addc_u32 s1, s3, s1
	ds_store_b32 v2, v3
	global_store_b32 v2, v3, s[0:1]
.LBB24_18:
	s_or_b32 exec_lo, exec_lo, s7
	v_mov_b32_e32 v2, 0
	s_waitcnt lgkmcnt(0)
	s_waitcnt_vscnt null, 0x0
	s_barrier
	buffer_gl0_inv
	s_mov_b32 s0, 0x43e00000
	ds_load_b32 v2, v2
	s_waitcnt lgkmcnt(0)
	v_div_scale_f32 v3, null, v2, v2, v1
	v_div_scale_f32 v6, vcc_lo, v1, v2, v1
	s_delay_alu instid0(VALU_DEP_2) | instskip(SKIP_2) | instid1(VALU_DEP_1)
	v_rcp_f32_e32 v4, v3
	s_waitcnt_depctr 0xfff
	v_fma_f32 v5, -v3, v4, 1.0
	v_fmac_f32_e32 v4, v5, v4
	s_delay_alu instid0(VALU_DEP_1) | instskip(NEXT) | instid1(VALU_DEP_1)
	v_mul_f32_e32 v5, v6, v4
	v_fma_f32 v7, -v3, v5, v6
	s_delay_alu instid0(VALU_DEP_1) | instskip(NEXT) | instid1(VALU_DEP_1)
	v_fmac_f32_e32 v5, v7, v4
	v_fma_f32 v3, -v3, v5, v6
	s_delay_alu instid0(VALU_DEP_1) | instskip(NEXT) | instid1(VALU_DEP_1)
	v_div_fmas_f32 v3, v3, v4, v5
	v_div_fixup_f32 v1, v3, v2, v1
	v_mov_b32_e32 v2, 0x7f
	s_delay_alu instid0(VALU_DEP_2) | instskip(SKIP_1) | instid1(VALU_DEP_1)
	v_minmax_f32 v1, v1, s0, 0xc3e00000
	s_mov_b32 s0, exec_lo
	v_and_b32_e32 v3, 0x7fffffff, v1
	s_delay_alu instid0(VALU_DEP_1)
	v_cmpx_gt_u32_e32 0x43f00000, v3
	s_cbranch_execz .LBB24_24
; %bb.19:
	s_mov_b32 s1, exec_lo
                                        ; implicit-def: $vgpr2
	v_cmpx_lt_u32_e32 0x3c7fffff, v3
	s_xor_b32 s1, exec_lo, s1
; %bb.20:
	v_bfe_u32 v2, v1, 20, 1
	s_delay_alu instid0(VALU_DEP_1) | instskip(NEXT) | instid1(VALU_DEP_1)
	v_add3_u32 v2, v1, v2, 0x407ffff
	v_lshrrev_b32_e32 v2, 20, v2
; %bb.21:
	s_and_not1_saveexec_b32 s1, s1
; %bb.22:
	v_add_f32_e64 v2, 0x46800000, |v1|
; %bb.23:
	s_or_b32 exec_lo, exec_lo, s1
.LBB24_24:
	s_delay_alu instid0(SALU_CYCLE_1)
	s_or_b32 exec_lo, exec_lo, s0
	s_mul_i32 s0, s14, s6
	v_lshrrev_b32_e32 v1, 24, v1
	s_ashr_i32 s1, s0, 31
	s_add_u32 s0, s8, s0
	s_addc_u32 s1, s9, s1
	s_add_u32 s0, s0, s4
	s_addc_u32 s1, s1, s5
	v_add_co_u32 v0, s0, s0, v0
	v_and_or_b32 v2, 0x80, v1, v2
	v_add_co_ci_u32_e64 v1, null, s1, 0, s0
	global_store_b8 v[0:1], v2, off
	s_nop 0
	s_sendmsg sendmsg(MSG_DEALLOC_VGPRS)
	s_endpgm
	.section	.rodata,"a",@progbits
	.p2align	6, 0x0
	.amdhsa_kernel _ZN4vllm35silu_and_mul_per_block_quant_kernelIN3c108BFloat16ENS1_13Float8_e4m3fnELb1ELi128EEEvPT0_PfPKT_PKfi
		.amdhsa_group_segment_fixed_size 512
		.amdhsa_private_segment_fixed_size 0
		.amdhsa_kernarg_size 296
		.amdhsa_user_sgpr_count 14
		.amdhsa_user_sgpr_dispatch_ptr 0
		.amdhsa_user_sgpr_queue_ptr 0
		.amdhsa_user_sgpr_kernarg_segment_ptr 1
		.amdhsa_user_sgpr_dispatch_id 0
		.amdhsa_user_sgpr_private_segment_size 0
		.amdhsa_wavefront_size32 1
		.amdhsa_uses_dynamic_stack 0
		.amdhsa_enable_private_segment 0
		.amdhsa_system_sgpr_workgroup_id_x 1
		.amdhsa_system_sgpr_workgroup_id_y 1
		.amdhsa_system_sgpr_workgroup_id_z 0
		.amdhsa_system_sgpr_workgroup_info 0
		.amdhsa_system_vgpr_workitem_id 0
		.amdhsa_next_free_vgpr 9
		.amdhsa_next_free_sgpr 16
		.amdhsa_reserve_vcc 1
		.amdhsa_float_round_mode_32 0
		.amdhsa_float_round_mode_16_64 0
		.amdhsa_float_denorm_mode_32 3
		.amdhsa_float_denorm_mode_16_64 3
		.amdhsa_dx10_clamp 1
		.amdhsa_ieee_mode 1
		.amdhsa_fp16_overflow 0
		.amdhsa_workgroup_processor_mode 1
		.amdhsa_memory_ordered 1
		.amdhsa_forward_progress 0
		.amdhsa_shared_vgpr_count 0
		.amdhsa_exception_fp_ieee_invalid_op 0
		.amdhsa_exception_fp_denorm_src 0
		.amdhsa_exception_fp_ieee_div_zero 0
		.amdhsa_exception_fp_ieee_overflow 0
		.amdhsa_exception_fp_ieee_underflow 0
		.amdhsa_exception_fp_ieee_inexact 0
		.amdhsa_exception_int_div_zero 0
	.end_amdhsa_kernel
	.section	.text._ZN4vllm35silu_and_mul_per_block_quant_kernelIN3c108BFloat16ENS1_13Float8_e4m3fnELb1ELi128EEEvPT0_PfPKT_PKfi,"axG",@progbits,_ZN4vllm35silu_and_mul_per_block_quant_kernelIN3c108BFloat16ENS1_13Float8_e4m3fnELb1ELi128EEEvPT0_PfPKT_PKfi,comdat
.Lfunc_end24:
	.size	_ZN4vllm35silu_and_mul_per_block_quant_kernelIN3c108BFloat16ENS1_13Float8_e4m3fnELb1ELi128EEEvPT0_PfPKT_PKfi, .Lfunc_end24-_ZN4vllm35silu_and_mul_per_block_quant_kernelIN3c108BFloat16ENS1_13Float8_e4m3fnELb1ELi128EEEvPT0_PfPKT_PKfi
                                        ; -- End function
	.section	.AMDGPU.csdata,"",@progbits
; Kernel info:
; codeLenInByte = 1508
; NumSgprs: 18
; NumVgprs: 9
; ScratchSize: 0
; MemoryBound: 0
; FloatMode: 240
; IeeeMode: 1
; LDSByteSize: 512 bytes/workgroup (compile time only)
; SGPRBlocks: 2
; VGPRBlocks: 1
; NumSGPRsForWavesPerEU: 18
; NumVGPRsForWavesPerEU: 9
; Occupancy: 16
; WaveLimiterHint : 0
; COMPUTE_PGM_RSRC2:SCRATCH_EN: 0
; COMPUTE_PGM_RSRC2:USER_SGPR: 14
; COMPUTE_PGM_RSRC2:TRAP_HANDLER: 0
; COMPUTE_PGM_RSRC2:TGID_X_EN: 1
; COMPUTE_PGM_RSRC2:TGID_Y_EN: 1
; COMPUTE_PGM_RSRC2:TGID_Z_EN: 0
; COMPUTE_PGM_RSRC2:TIDIG_COMP_CNT: 0
	.section	.text._ZN4vllm35silu_and_mul_per_block_quant_kernelIN3c108BFloat16ENS1_13Float8_e4m3fnELb0ELi128EEEvPT0_PfPKT_PKfi,"axG",@progbits,_ZN4vllm35silu_and_mul_per_block_quant_kernelIN3c108BFloat16ENS1_13Float8_e4m3fnELb0ELi128EEEvPT0_PfPKT_PKfi,comdat
	.protected	_ZN4vllm35silu_and_mul_per_block_quant_kernelIN3c108BFloat16ENS1_13Float8_e4m3fnELb0ELi128EEEvPT0_PfPKT_PKfi ; -- Begin function _ZN4vllm35silu_and_mul_per_block_quant_kernelIN3c108BFloat16ENS1_13Float8_e4m3fnELb0ELi128EEEvPT0_PfPKT_PKfi
	.globl	_ZN4vllm35silu_and_mul_per_block_quant_kernelIN3c108BFloat16ENS1_13Float8_e4m3fnELb0ELi128EEEvPT0_PfPKT_PKfi
	.p2align	8
	.type	_ZN4vllm35silu_and_mul_per_block_quant_kernelIN3c108BFloat16ENS1_13Float8_e4m3fnELb0ELi128EEEvPT0_PfPKT_PKfi,@function
_ZN4vllm35silu_and_mul_per_block_quant_kernelIN3c108BFloat16ENS1_13Float8_e4m3fnELb0ELi128EEEvPT0_PfPKT_PKfi: ; @_ZN4vllm35silu_and_mul_per_block_quant_kernelIN3c108BFloat16ENS1_13Float8_e4m3fnELb0ELi128EEEvPT0_PfPKT_PKfi
; %bb.0:
	s_clause 0x2
	s_load_b32 s6, s[0:1], 0x20
	s_load_b64 s[8:9], s[0:1], 0x10
	s_load_b32 s5, s[0:1], 0x2c
	s_lshl_b32 s2, s15, 7
	v_lshlrev_b32_e32 v1, 1, v0
	s_mov_b32 s4, s15
	s_waitcnt lgkmcnt(0)
	s_mul_i32 s10, s14, s6
	s_ashr_i32 s7, s6, 31
	s_lshl_b32 s12, s10, 1
	s_delay_alu instid0(SALU_CYCLE_1) | instskip(NEXT) | instid1(SALU_CYCLE_1)
	s_ashr_i32 s13, s12, 31
	s_lshl_b64 s[12:13], s[12:13], 1
	s_delay_alu instid0(SALU_CYCLE_1) | instskip(SKIP_2) | instid1(SALU_CYCLE_1)
	s_add_u32 s11, s8, s12
	s_addc_u32 s12, s9, s13
	s_ashr_i32 s3, s2, 31
	s_lshl_b64 s[8:9], s[2:3], 1
	s_delay_alu instid0(SALU_CYCLE_1)
	s_add_u32 s8, s11, s8
	s_addc_u32 s9, s12, s9
	s_lshl_b64 s[6:7], s[6:7], 1
	global_load_u16 v2, v1, s[8:9]
	s_add_u32 s6, s8, s6
	s_addc_u32 s7, s9, s7
	s_waitcnt vmcnt(0)
	v_lshlrev_b32_e32 v2, 16, v2
	s_delay_alu instid0(VALU_DEP_1) | instskip(NEXT) | instid1(VALU_DEP_1)
	v_mul_f32_e32 v3, 0xbfb8aa3b, v2
	v_fma_f32 v4, 0xbfb8aa3b, v2, -v3
	v_rndne_f32_e32 v5, v3
	s_delay_alu instid0(VALU_DEP_1)
	v_dual_sub_f32 v3, v3, v5 :: v_dual_fmamk_f32 v4, v2, 0xb2a5705f, v4
	global_load_u16 v1, v1, s[6:7]
	v_cmp_nlt_f32_e32 vcc_lo, 0x42ce8ed0, v2
	s_mov_b32 s6, exec_lo
	v_add_f32_e32 v3, v3, v4
	v_cvt_i32_f32_e32 v4, v5
	s_delay_alu instid0(VALU_DEP_2) | instskip(SKIP_2) | instid1(VALU_DEP_1)
	v_exp_f32_e32 v3, v3
	s_waitcnt_depctr 0xfff
	v_ldexp_f32 v3, v3, v4
	v_cndmask_b32_e32 v3, 0, v3, vcc_lo
	v_cmp_ngt_f32_e32 vcc_lo, 0xc2b17218, v2
	s_delay_alu instid0(VALU_DEP_2) | instskip(NEXT) | instid1(VALU_DEP_1)
	v_cndmask_b32_e32 v3, 0x7f800000, v3, vcc_lo
	v_add_f32_e32 v3, 1.0, v3
	s_delay_alu instid0(VALU_DEP_1) | instskip(SKIP_1) | instid1(VALU_DEP_2)
	v_div_scale_f32 v4, null, v3, v3, 1.0
	v_div_scale_f32 v7, vcc_lo, 1.0, v3, 1.0
	v_rcp_f32_e32 v5, v4
	s_waitcnt_depctr 0xfff
	v_fma_f32 v6, -v4, v5, 1.0
	s_delay_alu instid0(VALU_DEP_1) | instskip(NEXT) | instid1(VALU_DEP_1)
	v_fmac_f32_e32 v5, v6, v5
	v_mul_f32_e32 v6, v7, v5
	s_delay_alu instid0(VALU_DEP_1) | instskip(NEXT) | instid1(VALU_DEP_1)
	v_fma_f32 v8, -v4, v6, v7
	v_fmac_f32_e32 v6, v8, v5
	s_delay_alu instid0(VALU_DEP_1) | instskip(NEXT) | instid1(VALU_DEP_1)
	v_fma_f32 v4, -v4, v6, v7
	v_div_fmas_f32 v4, v4, v5, v6
	s_delay_alu instid0(VALU_DEP_1) | instskip(SKIP_1) | instid1(VALU_DEP_1)
	v_div_fixup_f32 v3, v4, v3, 1.0
	s_waitcnt vmcnt(0)
	v_dual_mul_f32 v2, v3, v2 :: v_dual_lshlrev_b32 v1, 16, v1
	s_delay_alu instid0(VALU_DEP_1) | instskip(NEXT) | instid1(VALU_DEP_1)
	v_dual_mul_f32 v1, v2, v1 :: v_dual_lshlrev_b32 v2, 2, v0
	v_and_b32_e32 v3, 0x7fffffff, v1
	ds_store_b32 v2, v3
	s_waitcnt lgkmcnt(0)
	s_barrier
	buffer_gl0_inv
	v_cmpx_gt_u32_e32 64, v0
	s_cbranch_execz .LBB25_2
; %bb.1:
	ds_load_2addr_stride64_b32 v[3:4], v2 offset1:1
	s_waitcnt lgkmcnt(0)
	v_dual_max_f32 v4, v4, v4 :: v_dual_max_f32 v3, v3, v3
	s_delay_alu instid0(VALU_DEP_1)
	v_max_f32_e32 v3, v3, v4
	ds_store_b32 v2, v3
.LBB25_2:
	s_or_b32 exec_lo, exec_lo, s6
	s_delay_alu instid0(SALU_CYCLE_1)
	s_mov_b32 s6, exec_lo
	s_waitcnt lgkmcnt(0)
	s_barrier
	buffer_gl0_inv
	v_cmpx_gt_u32_e32 32, v0
	s_cbranch_execz .LBB25_4
; %bb.3:
	ds_load_2addr_b32 v[3:4], v2 offset1:32
	s_waitcnt lgkmcnt(0)
	v_dual_max_f32 v4, v4, v4 :: v_dual_max_f32 v3, v3, v3
	s_delay_alu instid0(VALU_DEP_1)
	v_max_f32_e32 v3, v3, v4
	ds_store_b32 v2, v3
.LBB25_4:
	s_or_b32 exec_lo, exec_lo, s6
	s_delay_alu instid0(SALU_CYCLE_1)
	s_mov_b32 s6, exec_lo
	s_waitcnt lgkmcnt(0)
	s_barrier
	buffer_gl0_inv
	v_cmpx_gt_u32_e32 16, v0
	s_cbranch_execz .LBB25_6
; %bb.5:
	ds_load_2addr_b32 v[3:4], v2 offset1:16
	s_waitcnt lgkmcnt(0)
	v_dual_max_f32 v4, v4, v4 :: v_dual_max_f32 v3, v3, v3
	s_delay_alu instid0(VALU_DEP_1)
	v_max_f32_e32 v3, v3, v4
	ds_store_b32 v2, v3
.LBB25_6:
	;; [unrolled: 16-line block ×5, first 2 shown]
	s_or_b32 exec_lo, exec_lo, s6
	v_cmp_eq_u32_e32 vcc_lo, 0, v0
	s_waitcnt lgkmcnt(0)
	s_barrier
	buffer_gl0_inv
	s_and_saveexec_b32 s6, vcc_lo
	s_cbranch_execz .LBB25_14
; %bb.13:
	v_mov_b32_e32 v3, 0
	ds_load_b32 v3, v3 offset:4
	ds_load_b32 v4, v2
	s_waitcnt lgkmcnt(0)
	v_dual_max_f32 v3, v3, v3 :: v_dual_max_f32 v4, v4, v4
	s_delay_alu instid0(VALU_DEP_1)
	v_max_f32_e32 v3, v4, v3
	ds_store_b32 v2, v3
.LBB25_14:
	s_or_b32 exec_lo, exec_lo, s6
	s_load_b64 s[6:7], s[0:1], 0x0
	s_waitcnt lgkmcnt(0)
	s_barrier
	buffer_gl0_inv
	s_and_saveexec_b32 s11, vcc_lo
	s_cbranch_execz .LBB25_18
; %bb.15:
	v_mov_b32_e32 v2, 0
	ds_load_b32 v3, v2
	s_clause 0x1
	s_load_b64 s[8:9], s[0:1], 0x18
	s_load_b64 s[0:1], s[0:1], 0x8
	s_waitcnt lgkmcnt(0)
	s_cmp_eq_u64 s[8:9], 0
	v_div_scale_f32 v4, null, 0x43e00000, 0x43e00000, v3
	s_delay_alu instid0(VALU_DEP_1) | instskip(SKIP_2) | instid1(VALU_DEP_1)
	v_rcp_f32_e32 v5, v4
	s_waitcnt_depctr 0xfff
	v_fma_f32 v6, -v4, v5, 1.0
	v_fmac_f32_e32 v5, v6, v5
	v_div_scale_f32 v6, vcc_lo, v3, 0x43e00000, v3
	s_delay_alu instid0(VALU_DEP_1) | instskip(NEXT) | instid1(VALU_DEP_1)
	v_mul_f32_e32 v7, v6, v5
	v_fma_f32 v8, -v4, v7, v6
	s_delay_alu instid0(VALU_DEP_1) | instskip(NEXT) | instid1(VALU_DEP_1)
	v_fmac_f32_e32 v7, v8, v5
	v_fma_f32 v4, -v4, v7, v6
	s_delay_alu instid0(VALU_DEP_1) | instskip(NEXT) | instid1(VALU_DEP_1)
	v_div_fmas_f32 v4, v4, v5, v7
	v_div_fixup_f32 v3, v4, 0x43e00000, v3
	s_cbranch_scc1 .LBB25_17
; %bb.16:
	s_load_b32 s8, s[8:9], 0x0
	s_delay_alu instid0(VALU_DEP_1) | instskip(SKIP_2) | instid1(VALU_DEP_1)
	v_max_f32_e32 v3, v3, v3
	s_waitcnt lgkmcnt(0)
	v_max_f32_e64 v4, s8, s8
	v_min_f32_e32 v3, v3, v4
.LBB25_17:
	s_mul_i32 s8, s5, s14
	s_delay_alu instid0(VALU_DEP_1) | instskip(SKIP_3) | instid1(VALU_DEP_1)
	v_max_f32_e32 v3, v3, v3
	s_ashr_i32 s9, s8, 31
	s_ashr_i32 s5, s4, 31
	s_lshl_b64 s[8:9], s[8:9], 2
	v_max_f32_e32 v3, 0x36924925, v3
	s_add_u32 s8, s0, s8
	s_addc_u32 s9, s1, s9
	s_lshl_b64 s[0:1], s[4:5], 2
	s_delay_alu instid0(SALU_CYCLE_1)
	s_add_u32 s0, s8, s0
	s_addc_u32 s1, s9, s1
	ds_store_b32 v2, v3
	global_store_b32 v2, v3, s[0:1]
.LBB25_18:
	s_or_b32 exec_lo, exec_lo, s11
	v_mov_b32_e32 v2, 0
	s_waitcnt lgkmcnt(0)
	s_waitcnt_vscnt null, 0x0
	s_barrier
	buffer_gl0_inv
	s_mov_b32 s0, 0x43e00000
	ds_load_b32 v2, v2
	s_waitcnt lgkmcnt(0)
	v_div_scale_f32 v3, null, v2, v2, v1
	v_div_scale_f32 v6, vcc_lo, v1, v2, v1
	s_delay_alu instid0(VALU_DEP_2) | instskip(SKIP_2) | instid1(VALU_DEP_1)
	v_rcp_f32_e32 v4, v3
	s_waitcnt_depctr 0xfff
	v_fma_f32 v5, -v3, v4, 1.0
	v_fmac_f32_e32 v4, v5, v4
	s_delay_alu instid0(VALU_DEP_1) | instskip(NEXT) | instid1(VALU_DEP_1)
	v_mul_f32_e32 v5, v6, v4
	v_fma_f32 v7, -v3, v5, v6
	s_delay_alu instid0(VALU_DEP_1) | instskip(NEXT) | instid1(VALU_DEP_1)
	v_fmac_f32_e32 v5, v7, v4
	v_fma_f32 v3, -v3, v5, v6
	s_delay_alu instid0(VALU_DEP_1) | instskip(NEXT) | instid1(VALU_DEP_1)
	v_div_fmas_f32 v3, v3, v4, v5
	v_div_fixup_f32 v1, v3, v2, v1
	v_mov_b32_e32 v2, 0x7f
	s_delay_alu instid0(VALU_DEP_2) | instskip(SKIP_1) | instid1(VALU_DEP_1)
	v_minmax_f32 v1, v1, s0, 0xc3e00000
	s_mov_b32 s0, exec_lo
	v_and_b32_e32 v3, 0x7fffffff, v1
	s_delay_alu instid0(VALU_DEP_1)
	v_cmpx_gt_u32_e32 0x43f00000, v3
	s_cbranch_execz .LBB25_24
; %bb.19:
	s_mov_b32 s1, exec_lo
                                        ; implicit-def: $vgpr2
	v_cmpx_lt_u32_e32 0x3c7fffff, v3
	s_xor_b32 s1, exec_lo, s1
; %bb.20:
	v_bfe_u32 v2, v1, 20, 1
	s_delay_alu instid0(VALU_DEP_1) | instskip(NEXT) | instid1(VALU_DEP_1)
	v_add3_u32 v2, v1, v2, 0x407ffff
	v_lshrrev_b32_e32 v2, 20, v2
; %bb.21:
	s_and_not1_saveexec_b32 s1, s1
; %bb.22:
	v_add_f32_e64 v2, 0x46800000, |v1|
; %bb.23:
	s_or_b32 exec_lo, exec_lo, s1
.LBB25_24:
	s_delay_alu instid0(SALU_CYCLE_1)
	s_or_b32 exec_lo, exec_lo, s0
	s_ashr_i32 s0, s10, 31
	s_add_u32 s1, s6, s10
	v_lshrrev_b32_e32 v1, 24, v1
	s_addc_u32 s0, s7, s0
	s_add_u32 s1, s1, s2
	s_addc_u32 s0, s0, s3
	v_add_co_u32 v0, s1, s1, v0
	v_and_or_b32 v2, 0x80, v1, v2
	v_add_co_ci_u32_e64 v1, null, s0, 0, s1
	global_store_b8 v[0:1], v2, off
	s_nop 0
	s_sendmsg sendmsg(MSG_DEALLOC_VGPRS)
	s_endpgm
	.section	.rodata,"a",@progbits
	.p2align	6, 0x0
	.amdhsa_kernel _ZN4vllm35silu_and_mul_per_block_quant_kernelIN3c108BFloat16ENS1_13Float8_e4m3fnELb0ELi128EEEvPT0_PfPKT_PKfi
		.amdhsa_group_segment_fixed_size 512
		.amdhsa_private_segment_fixed_size 0
		.amdhsa_kernarg_size 296
		.amdhsa_user_sgpr_count 14
		.amdhsa_user_sgpr_dispatch_ptr 0
		.amdhsa_user_sgpr_queue_ptr 0
		.amdhsa_user_sgpr_kernarg_segment_ptr 1
		.amdhsa_user_sgpr_dispatch_id 0
		.amdhsa_user_sgpr_private_segment_size 0
		.amdhsa_wavefront_size32 1
		.amdhsa_uses_dynamic_stack 0
		.amdhsa_enable_private_segment 0
		.amdhsa_system_sgpr_workgroup_id_x 1
		.amdhsa_system_sgpr_workgroup_id_y 1
		.amdhsa_system_sgpr_workgroup_id_z 0
		.amdhsa_system_sgpr_workgroup_info 0
		.amdhsa_system_vgpr_workitem_id 0
		.amdhsa_next_free_vgpr 9
		.amdhsa_next_free_sgpr 16
		.amdhsa_reserve_vcc 1
		.amdhsa_float_round_mode_32 0
		.amdhsa_float_round_mode_16_64 0
		.amdhsa_float_denorm_mode_32 3
		.amdhsa_float_denorm_mode_16_64 3
		.amdhsa_dx10_clamp 1
		.amdhsa_ieee_mode 1
		.amdhsa_fp16_overflow 0
		.amdhsa_workgroup_processor_mode 1
		.amdhsa_memory_ordered 1
		.amdhsa_forward_progress 0
		.amdhsa_shared_vgpr_count 0
		.amdhsa_exception_fp_ieee_invalid_op 0
		.amdhsa_exception_fp_denorm_src 0
		.amdhsa_exception_fp_ieee_div_zero 0
		.amdhsa_exception_fp_ieee_overflow 0
		.amdhsa_exception_fp_ieee_underflow 0
		.amdhsa_exception_fp_ieee_inexact 0
		.amdhsa_exception_int_div_zero 0
	.end_amdhsa_kernel
	.section	.text._ZN4vllm35silu_and_mul_per_block_quant_kernelIN3c108BFloat16ENS1_13Float8_e4m3fnELb0ELi128EEEvPT0_PfPKT_PKfi,"axG",@progbits,_ZN4vllm35silu_and_mul_per_block_quant_kernelIN3c108BFloat16ENS1_13Float8_e4m3fnELb0ELi128EEEvPT0_PfPKT_PKfi,comdat
.Lfunc_end25:
	.size	_ZN4vllm35silu_and_mul_per_block_quant_kernelIN3c108BFloat16ENS1_13Float8_e4m3fnELb0ELi128EEEvPT0_PfPKT_PKfi, .Lfunc_end25-_ZN4vllm35silu_and_mul_per_block_quant_kernelIN3c108BFloat16ENS1_13Float8_e4m3fnELb0ELi128EEEvPT0_PfPKT_PKfi
                                        ; -- End function
	.section	.AMDGPU.csdata,"",@progbits
; Kernel info:
; codeLenInByte = 1508
; NumSgprs: 18
; NumVgprs: 9
; ScratchSize: 0
; MemoryBound: 0
; FloatMode: 240
; IeeeMode: 1
; LDSByteSize: 512 bytes/workgroup (compile time only)
; SGPRBlocks: 2
; VGPRBlocks: 1
; NumSGPRsForWavesPerEU: 18
; NumVGPRsForWavesPerEU: 9
; Occupancy: 16
; WaveLimiterHint : 0
; COMPUTE_PGM_RSRC2:SCRATCH_EN: 0
; COMPUTE_PGM_RSRC2:USER_SGPR: 14
; COMPUTE_PGM_RSRC2:TRAP_HANDLER: 0
; COMPUTE_PGM_RSRC2:TGID_X_EN: 1
; COMPUTE_PGM_RSRC2:TGID_Y_EN: 1
; COMPUTE_PGM_RSRC2:TGID_Z_EN: 0
; COMPUTE_PGM_RSRC2:TIDIG_COMP_CNT: 0
	.section	.text._ZN4vllm35silu_and_mul_per_block_quant_kernelIN3c108BFloat16ENS1_13Float8_e4m3fnELb1ELi64EEEvPT0_PfPKT_PKfi,"axG",@progbits,_ZN4vllm35silu_and_mul_per_block_quant_kernelIN3c108BFloat16ENS1_13Float8_e4m3fnELb1ELi64EEEvPT0_PfPKT_PKfi,comdat
	.protected	_ZN4vllm35silu_and_mul_per_block_quant_kernelIN3c108BFloat16ENS1_13Float8_e4m3fnELb1ELi64EEEvPT0_PfPKT_PKfi ; -- Begin function _ZN4vllm35silu_and_mul_per_block_quant_kernelIN3c108BFloat16ENS1_13Float8_e4m3fnELb1ELi64EEEvPT0_PfPKT_PKfi
	.globl	_ZN4vllm35silu_and_mul_per_block_quant_kernelIN3c108BFloat16ENS1_13Float8_e4m3fnELb1ELi64EEEvPT0_PfPKT_PKfi
	.p2align	8
	.type	_ZN4vllm35silu_and_mul_per_block_quant_kernelIN3c108BFloat16ENS1_13Float8_e4m3fnELb1ELi64EEEvPT0_PfPKT_PKfi,@function
_ZN4vllm35silu_and_mul_per_block_quant_kernelIN3c108BFloat16ENS1_13Float8_e4m3fnELb1ELi64EEEvPT0_PfPKT_PKfi: ; @_ZN4vllm35silu_and_mul_per_block_quant_kernelIN3c108BFloat16ENS1_13Float8_e4m3fnELb1ELi64EEEvPT0_PfPKT_PKfi
; %bb.0:
	s_clause 0x2
	s_load_b32 s6, s[0:1], 0x20
	s_load_b64 s[8:9], s[0:1], 0x10
	s_load_b32 s3, s[0:1], 0x28
	v_lshlrev_b32_e32 v1, 1, v0
	s_mov_b32 s2, s15
	s_waitcnt lgkmcnt(0)
	s_mul_i32 s4, s14, s6
	s_ashr_i32 s7, s6, 31
	s_lshl_b32 s10, s4, 1
	s_lshl_b32 s4, s15, 6
	s_ashr_i32 s11, s10, 31
	s_delay_alu instid0(SALU_CYCLE_1) | instskip(NEXT) | instid1(SALU_CYCLE_1)
	s_lshl_b64 s[10:11], s[10:11], 1
	s_add_u32 s10, s8, s10
	s_addc_u32 s11, s9, s11
	s_ashr_i32 s5, s4, 31
	s_delay_alu instid0(SALU_CYCLE_1) | instskip(NEXT) | instid1(SALU_CYCLE_1)
	s_lshl_b64 s[8:9], s[4:5], 1
	s_add_u32 s8, s10, s8
	s_addc_u32 s9, s11, s9
	s_lshl_b64 s[10:11], s[6:7], 1
	global_load_u16 v2, v1, s[8:9]
	s_add_u32 s8, s8, s10
	s_addc_u32 s9, s9, s11
	s_mov_b32 s7, exec_lo
	s_waitcnt vmcnt(0)
	v_lshlrev_b32_e32 v2, 16, v2
	s_delay_alu instid0(VALU_DEP_1) | instskip(NEXT) | instid1(VALU_DEP_1)
	v_mul_f32_e32 v3, 0xbfb8aa3b, v2
	v_fma_f32 v4, 0xbfb8aa3b, v2, -v3
	v_rndne_f32_e32 v5, v3
	s_delay_alu instid0(VALU_DEP_1) | instskip(SKIP_4) | instid1(VALU_DEP_2)
	v_dual_sub_f32 v3, v3, v5 :: v_dual_fmamk_f32 v4, v2, 0xb2a5705f, v4
	global_load_u16 v1, v1, s[8:9]
	v_cmp_nlt_f32_e32 vcc_lo, 0x42ce8ed0, v2
	v_add_f32_e32 v3, v3, v4
	v_cvt_i32_f32_e32 v4, v5
	v_exp_f32_e32 v3, v3
	s_waitcnt_depctr 0xfff
	v_ldexp_f32 v3, v3, v4
	s_delay_alu instid0(VALU_DEP_1) | instskip(SKIP_1) | instid1(VALU_DEP_2)
	v_cndmask_b32_e32 v3, 0, v3, vcc_lo
	v_cmp_ngt_f32_e32 vcc_lo, 0xc2b17218, v2
	v_cndmask_b32_e32 v3, 0x7f800000, v3, vcc_lo
	s_delay_alu instid0(VALU_DEP_1) | instskip(NEXT) | instid1(VALU_DEP_1)
	v_add_f32_e32 v3, 1.0, v3
	v_div_scale_f32 v4, null, v3, v3, 1.0
	v_div_scale_f32 v7, vcc_lo, 1.0, v3, 1.0
	s_delay_alu instid0(VALU_DEP_2) | instskip(SKIP_2) | instid1(VALU_DEP_1)
	v_rcp_f32_e32 v5, v4
	s_waitcnt_depctr 0xfff
	v_fma_f32 v6, -v4, v5, 1.0
	v_fmac_f32_e32 v5, v6, v5
	s_delay_alu instid0(VALU_DEP_1) | instskip(NEXT) | instid1(VALU_DEP_1)
	v_mul_f32_e32 v6, v7, v5
	v_fma_f32 v8, -v4, v6, v7
	s_delay_alu instid0(VALU_DEP_1) | instskip(NEXT) | instid1(VALU_DEP_1)
	v_fmac_f32_e32 v6, v8, v5
	v_fma_f32 v4, -v4, v6, v7
	s_delay_alu instid0(VALU_DEP_1) | instskip(NEXT) | instid1(VALU_DEP_1)
	v_div_fmas_f32 v4, v4, v5, v6
	v_div_fixup_f32 v3, v4, v3, 1.0
	s_waitcnt vmcnt(0)
	s_delay_alu instid0(VALU_DEP_1) | instskip(NEXT) | instid1(VALU_DEP_1)
	v_dual_mul_f32 v2, v3, v2 :: v_dual_lshlrev_b32 v1, 16, v1
	v_dual_mul_f32 v1, v2, v1 :: v_dual_lshlrev_b32 v2, 2, v0
	s_delay_alu instid0(VALU_DEP_1)
	v_and_b32_e32 v3, 0x7fffffff, v1
	ds_store_b32 v2, v3
	s_waitcnt lgkmcnt(0)
	s_barrier
	buffer_gl0_inv
	v_cmpx_gt_u32_e32 32, v0
	s_cbranch_execz .LBB26_2
; %bb.1:
	ds_load_2addr_b32 v[3:4], v2 offset1:32
	s_waitcnt lgkmcnt(0)
	v_dual_max_f32 v4, v4, v4 :: v_dual_max_f32 v3, v3, v3
	s_delay_alu instid0(VALU_DEP_1)
	v_max_f32_e32 v3, v3, v4
	ds_store_b32 v2, v3
.LBB26_2:
	s_or_b32 exec_lo, exec_lo, s7
	s_delay_alu instid0(SALU_CYCLE_1)
	s_mov_b32 s7, exec_lo
	s_waitcnt lgkmcnt(0)
	s_barrier
	buffer_gl0_inv
	v_cmpx_gt_u32_e32 16, v0
	s_cbranch_execz .LBB26_4
; %bb.3:
	ds_load_2addr_b32 v[3:4], v2 offset1:16
	s_waitcnt lgkmcnt(0)
	v_dual_max_f32 v4, v4, v4 :: v_dual_max_f32 v3, v3, v3
	s_delay_alu instid0(VALU_DEP_1)
	v_max_f32_e32 v3, v3, v4
	ds_store_b32 v2, v3
.LBB26_4:
	s_or_b32 exec_lo, exec_lo, s7
	s_delay_alu instid0(SALU_CYCLE_1)
	s_mov_b32 s7, exec_lo
	;; [unrolled: 16-line block ×4, first 2 shown]
	s_waitcnt lgkmcnt(0)
	s_barrier
	buffer_gl0_inv
	v_cmpx_gt_u32_e32 2, v0
	s_cbranch_execz .LBB26_10
; %bb.9:
	ds_load_2addr_b32 v[3:4], v2 offset1:2
	s_waitcnt lgkmcnt(0)
	v_dual_max_f32 v4, v4, v4 :: v_dual_max_f32 v3, v3, v3
	s_delay_alu instid0(VALU_DEP_1)
	v_max_f32_e32 v3, v3, v4
	ds_store_b32 v2, v3
.LBB26_10:
	s_or_b32 exec_lo, exec_lo, s7
	v_cmp_eq_u32_e32 vcc_lo, 0, v0
	s_waitcnt lgkmcnt(0)
	s_barrier
	buffer_gl0_inv
	s_and_saveexec_b32 s7, vcc_lo
	s_cbranch_execz .LBB26_12
; %bb.11:
	v_mov_b32_e32 v3, 0
	ds_load_b32 v3, v3 offset:4
	ds_load_b32 v4, v2
	s_waitcnt lgkmcnt(0)
	v_dual_max_f32 v3, v3, v3 :: v_dual_max_f32 v4, v4, v4
	s_delay_alu instid0(VALU_DEP_1)
	v_max_f32_e32 v3, v4, v3
	ds_store_b32 v2, v3
.LBB26_12:
	s_or_b32 exec_lo, exec_lo, s7
	s_load_b64 s[8:9], s[0:1], 0x0
	s_ashr_i32 s15, s14, 31
	s_waitcnt lgkmcnt(0)
	s_barrier
	buffer_gl0_inv
	s_and_saveexec_b32 s7, vcc_lo
	s_cbranch_execz .LBB26_16
; %bb.13:
	v_mov_b32_e32 v2, 0
	ds_load_b32 v3, v2
	s_clause 0x1
	s_load_b64 s[10:11], s[0:1], 0x18
	s_load_b64 s[0:1], s[0:1], 0x8
	s_waitcnt lgkmcnt(0)
	s_cmp_eq_u64 s[10:11], 0
	v_div_scale_f32 v4, null, 0x43e00000, 0x43e00000, v3
	s_delay_alu instid0(VALU_DEP_1) | instskip(SKIP_2) | instid1(VALU_DEP_1)
	v_rcp_f32_e32 v5, v4
	s_waitcnt_depctr 0xfff
	v_fma_f32 v6, -v4, v5, 1.0
	v_fmac_f32_e32 v5, v6, v5
	v_div_scale_f32 v6, vcc_lo, v3, 0x43e00000, v3
	s_delay_alu instid0(VALU_DEP_1) | instskip(NEXT) | instid1(VALU_DEP_1)
	v_mul_f32_e32 v7, v6, v5
	v_fma_f32 v8, -v4, v7, v6
	s_delay_alu instid0(VALU_DEP_1) | instskip(NEXT) | instid1(VALU_DEP_1)
	v_fmac_f32_e32 v7, v8, v5
	v_fma_f32 v4, -v4, v7, v6
	s_delay_alu instid0(VALU_DEP_1) | instskip(NEXT) | instid1(VALU_DEP_1)
	v_div_fmas_f32 v4, v4, v5, v7
	v_div_fixup_f32 v3, v4, 0x43e00000, v3
	s_cbranch_scc1 .LBB26_15
; %bb.14:
	s_load_b32 s10, s[10:11], 0x0
	s_delay_alu instid0(VALU_DEP_1) | instskip(SKIP_2) | instid1(VALU_DEP_1)
	v_max_f32_e32 v3, v3, v3
	s_waitcnt lgkmcnt(0)
	v_max_f32_e64 v4, s10, s10
	v_min_f32_e32 v3, v3, v4
.LBB26_15:
	s_mul_i32 s2, s3, s2
	s_delay_alu instid0(VALU_DEP_1) | instskip(SKIP_1) | instid1(SALU_CYCLE_1)
	v_max_f32_e32 v3, v3, v3
	s_ashr_i32 s3, s2, 31
	s_lshl_b64 s[2:3], s[2:3], 2
	s_delay_alu instid0(VALU_DEP_1) | instskip(SKIP_3) | instid1(SALU_CYCLE_1)
	v_max_f32_e32 v3, 0x36924925, v3
	s_add_u32 s2, s0, s2
	s_addc_u32 s3, s1, s3
	s_lshl_b64 s[0:1], s[14:15], 2
	s_add_u32 s0, s2, s0
	s_addc_u32 s1, s3, s1
	ds_store_b32 v2, v3
	global_store_b32 v2, v3, s[0:1]
.LBB26_16:
	s_or_b32 exec_lo, exec_lo, s7
	v_mov_b32_e32 v2, 0
	s_waitcnt lgkmcnt(0)
	s_waitcnt_vscnt null, 0x0
	s_barrier
	buffer_gl0_inv
	s_mov_b32 s0, 0x43e00000
	ds_load_b32 v2, v2
	s_waitcnt lgkmcnt(0)
	v_div_scale_f32 v3, null, v2, v2, v1
	v_div_scale_f32 v6, vcc_lo, v1, v2, v1
	s_delay_alu instid0(VALU_DEP_2) | instskip(SKIP_2) | instid1(VALU_DEP_1)
	v_rcp_f32_e32 v4, v3
	s_waitcnt_depctr 0xfff
	v_fma_f32 v5, -v3, v4, 1.0
	v_fmac_f32_e32 v4, v5, v4
	s_delay_alu instid0(VALU_DEP_1) | instskip(NEXT) | instid1(VALU_DEP_1)
	v_mul_f32_e32 v5, v6, v4
	v_fma_f32 v7, -v3, v5, v6
	s_delay_alu instid0(VALU_DEP_1) | instskip(NEXT) | instid1(VALU_DEP_1)
	v_fmac_f32_e32 v5, v7, v4
	v_fma_f32 v3, -v3, v5, v6
	s_delay_alu instid0(VALU_DEP_1) | instskip(NEXT) | instid1(VALU_DEP_1)
	v_div_fmas_f32 v3, v3, v4, v5
	v_div_fixup_f32 v1, v3, v2, v1
	v_mov_b32_e32 v2, 0x7f
	s_delay_alu instid0(VALU_DEP_2) | instskip(SKIP_1) | instid1(VALU_DEP_1)
	v_minmax_f32 v1, v1, s0, 0xc3e00000
	s_mov_b32 s0, exec_lo
	v_and_b32_e32 v3, 0x7fffffff, v1
	s_delay_alu instid0(VALU_DEP_1)
	v_cmpx_gt_u32_e32 0x43f00000, v3
	s_cbranch_execz .LBB26_22
; %bb.17:
	s_mov_b32 s1, exec_lo
                                        ; implicit-def: $vgpr2
	v_cmpx_lt_u32_e32 0x3c7fffff, v3
	s_xor_b32 s1, exec_lo, s1
; %bb.18:
	v_bfe_u32 v2, v1, 20, 1
	s_delay_alu instid0(VALU_DEP_1) | instskip(NEXT) | instid1(VALU_DEP_1)
	v_add3_u32 v2, v1, v2, 0x407ffff
	v_lshrrev_b32_e32 v2, 20, v2
; %bb.19:
	s_and_not1_saveexec_b32 s1, s1
; %bb.20:
	v_add_f32_e64 v2, 0x46800000, |v1|
; %bb.21:
	s_or_b32 exec_lo, exec_lo, s1
.LBB26_22:
	s_delay_alu instid0(SALU_CYCLE_1)
	s_or_b32 exec_lo, exec_lo, s0
	s_mul_i32 s0, s14, s6
	v_lshrrev_b32_e32 v1, 24, v1
	s_ashr_i32 s1, s0, 31
	s_add_u32 s0, s8, s0
	s_addc_u32 s1, s9, s1
	s_add_u32 s0, s0, s4
	s_addc_u32 s1, s1, s5
	v_add_co_u32 v0, s0, s0, v0
	v_and_or_b32 v2, 0x80, v1, v2
	v_add_co_ci_u32_e64 v1, null, s1, 0, s0
	global_store_b8 v[0:1], v2, off
	s_nop 0
	s_sendmsg sendmsg(MSG_DEALLOC_VGPRS)
	s_endpgm
	.section	.rodata,"a",@progbits
	.p2align	6, 0x0
	.amdhsa_kernel _ZN4vllm35silu_and_mul_per_block_quant_kernelIN3c108BFloat16ENS1_13Float8_e4m3fnELb1ELi64EEEvPT0_PfPKT_PKfi
		.amdhsa_group_segment_fixed_size 256
		.amdhsa_private_segment_fixed_size 0
		.amdhsa_kernarg_size 296
		.amdhsa_user_sgpr_count 14
		.amdhsa_user_sgpr_dispatch_ptr 0
		.amdhsa_user_sgpr_queue_ptr 0
		.amdhsa_user_sgpr_kernarg_segment_ptr 1
		.amdhsa_user_sgpr_dispatch_id 0
		.amdhsa_user_sgpr_private_segment_size 0
		.amdhsa_wavefront_size32 1
		.amdhsa_uses_dynamic_stack 0
		.amdhsa_enable_private_segment 0
		.amdhsa_system_sgpr_workgroup_id_x 1
		.amdhsa_system_sgpr_workgroup_id_y 1
		.amdhsa_system_sgpr_workgroup_id_z 0
		.amdhsa_system_sgpr_workgroup_info 0
		.amdhsa_system_vgpr_workitem_id 0
		.amdhsa_next_free_vgpr 9
		.amdhsa_next_free_sgpr 16
		.amdhsa_reserve_vcc 1
		.amdhsa_float_round_mode_32 0
		.amdhsa_float_round_mode_16_64 0
		.amdhsa_float_denorm_mode_32 3
		.amdhsa_float_denorm_mode_16_64 3
		.amdhsa_dx10_clamp 1
		.amdhsa_ieee_mode 1
		.amdhsa_fp16_overflow 0
		.amdhsa_workgroup_processor_mode 1
		.amdhsa_memory_ordered 1
		.amdhsa_forward_progress 0
		.amdhsa_shared_vgpr_count 0
		.amdhsa_exception_fp_ieee_invalid_op 0
		.amdhsa_exception_fp_denorm_src 0
		.amdhsa_exception_fp_ieee_div_zero 0
		.amdhsa_exception_fp_ieee_overflow 0
		.amdhsa_exception_fp_ieee_underflow 0
		.amdhsa_exception_fp_ieee_inexact 0
		.amdhsa_exception_int_div_zero 0
	.end_amdhsa_kernel
	.section	.text._ZN4vllm35silu_and_mul_per_block_quant_kernelIN3c108BFloat16ENS1_13Float8_e4m3fnELb1ELi64EEEvPT0_PfPKT_PKfi,"axG",@progbits,_ZN4vllm35silu_and_mul_per_block_quant_kernelIN3c108BFloat16ENS1_13Float8_e4m3fnELb1ELi64EEEvPT0_PfPKT_PKfi,comdat
.Lfunc_end26:
	.size	_ZN4vllm35silu_and_mul_per_block_quant_kernelIN3c108BFloat16ENS1_13Float8_e4m3fnELb1ELi64EEEvPT0_PfPKT_PKfi, .Lfunc_end26-_ZN4vllm35silu_and_mul_per_block_quant_kernelIN3c108BFloat16ENS1_13Float8_e4m3fnELb1ELi64EEEvPT0_PfPKT_PKfi
                                        ; -- End function
	.section	.AMDGPU.csdata,"",@progbits
; Kernel info:
; codeLenInByte = 1436
; NumSgprs: 18
; NumVgprs: 9
; ScratchSize: 0
; MemoryBound: 0
; FloatMode: 240
; IeeeMode: 1
; LDSByteSize: 256 bytes/workgroup (compile time only)
; SGPRBlocks: 2
; VGPRBlocks: 1
; NumSGPRsForWavesPerEU: 18
; NumVGPRsForWavesPerEU: 9
; Occupancy: 16
; WaveLimiterHint : 0
; COMPUTE_PGM_RSRC2:SCRATCH_EN: 0
; COMPUTE_PGM_RSRC2:USER_SGPR: 14
; COMPUTE_PGM_RSRC2:TRAP_HANDLER: 0
; COMPUTE_PGM_RSRC2:TGID_X_EN: 1
; COMPUTE_PGM_RSRC2:TGID_Y_EN: 1
; COMPUTE_PGM_RSRC2:TGID_Z_EN: 0
; COMPUTE_PGM_RSRC2:TIDIG_COMP_CNT: 0
	.section	.text._ZN4vllm35silu_and_mul_per_block_quant_kernelIN3c108BFloat16ENS1_13Float8_e4m3fnELb0ELi64EEEvPT0_PfPKT_PKfi,"axG",@progbits,_ZN4vllm35silu_and_mul_per_block_quant_kernelIN3c108BFloat16ENS1_13Float8_e4m3fnELb0ELi64EEEvPT0_PfPKT_PKfi,comdat
	.protected	_ZN4vllm35silu_and_mul_per_block_quant_kernelIN3c108BFloat16ENS1_13Float8_e4m3fnELb0ELi64EEEvPT0_PfPKT_PKfi ; -- Begin function _ZN4vllm35silu_and_mul_per_block_quant_kernelIN3c108BFloat16ENS1_13Float8_e4m3fnELb0ELi64EEEvPT0_PfPKT_PKfi
	.globl	_ZN4vllm35silu_and_mul_per_block_quant_kernelIN3c108BFloat16ENS1_13Float8_e4m3fnELb0ELi64EEEvPT0_PfPKT_PKfi
	.p2align	8
	.type	_ZN4vllm35silu_and_mul_per_block_quant_kernelIN3c108BFloat16ENS1_13Float8_e4m3fnELb0ELi64EEEvPT0_PfPKT_PKfi,@function
_ZN4vllm35silu_and_mul_per_block_quant_kernelIN3c108BFloat16ENS1_13Float8_e4m3fnELb0ELi64EEEvPT0_PfPKT_PKfi: ; @_ZN4vllm35silu_and_mul_per_block_quant_kernelIN3c108BFloat16ENS1_13Float8_e4m3fnELb0ELi64EEEvPT0_PfPKT_PKfi
; %bb.0:
	s_clause 0x2
	s_load_b32 s6, s[0:1], 0x20
	s_load_b64 s[8:9], s[0:1], 0x10
	s_load_b32 s5, s[0:1], 0x2c
	s_lshl_b32 s2, s15, 6
	v_lshlrev_b32_e32 v1, 1, v0
	s_mov_b32 s4, s15
	s_waitcnt lgkmcnt(0)
	s_mul_i32 s10, s14, s6
	s_ashr_i32 s7, s6, 31
	s_lshl_b32 s12, s10, 1
	s_delay_alu instid0(SALU_CYCLE_1) | instskip(NEXT) | instid1(SALU_CYCLE_1)
	s_ashr_i32 s13, s12, 31
	s_lshl_b64 s[12:13], s[12:13], 1
	s_delay_alu instid0(SALU_CYCLE_1) | instskip(SKIP_2) | instid1(SALU_CYCLE_1)
	s_add_u32 s11, s8, s12
	s_addc_u32 s12, s9, s13
	s_ashr_i32 s3, s2, 31
	s_lshl_b64 s[8:9], s[2:3], 1
	s_delay_alu instid0(SALU_CYCLE_1)
	s_add_u32 s8, s11, s8
	s_addc_u32 s9, s12, s9
	s_lshl_b64 s[6:7], s[6:7], 1
	global_load_u16 v2, v1, s[8:9]
	s_add_u32 s6, s8, s6
	s_addc_u32 s7, s9, s7
	s_waitcnt vmcnt(0)
	v_lshlrev_b32_e32 v2, 16, v2
	s_delay_alu instid0(VALU_DEP_1) | instskip(NEXT) | instid1(VALU_DEP_1)
	v_mul_f32_e32 v3, 0xbfb8aa3b, v2
	v_fma_f32 v4, 0xbfb8aa3b, v2, -v3
	v_rndne_f32_e32 v5, v3
	s_delay_alu instid0(VALU_DEP_1)
	v_dual_sub_f32 v3, v3, v5 :: v_dual_fmamk_f32 v4, v2, 0xb2a5705f, v4
	global_load_u16 v1, v1, s[6:7]
	v_cmp_nlt_f32_e32 vcc_lo, 0x42ce8ed0, v2
	s_mov_b32 s6, exec_lo
	v_add_f32_e32 v3, v3, v4
	v_cvt_i32_f32_e32 v4, v5
	s_delay_alu instid0(VALU_DEP_2) | instskip(SKIP_2) | instid1(VALU_DEP_1)
	v_exp_f32_e32 v3, v3
	s_waitcnt_depctr 0xfff
	v_ldexp_f32 v3, v3, v4
	v_cndmask_b32_e32 v3, 0, v3, vcc_lo
	v_cmp_ngt_f32_e32 vcc_lo, 0xc2b17218, v2
	s_delay_alu instid0(VALU_DEP_2) | instskip(NEXT) | instid1(VALU_DEP_1)
	v_cndmask_b32_e32 v3, 0x7f800000, v3, vcc_lo
	v_add_f32_e32 v3, 1.0, v3
	s_delay_alu instid0(VALU_DEP_1) | instskip(SKIP_1) | instid1(VALU_DEP_2)
	v_div_scale_f32 v4, null, v3, v3, 1.0
	v_div_scale_f32 v7, vcc_lo, 1.0, v3, 1.0
	v_rcp_f32_e32 v5, v4
	s_waitcnt_depctr 0xfff
	v_fma_f32 v6, -v4, v5, 1.0
	s_delay_alu instid0(VALU_DEP_1) | instskip(NEXT) | instid1(VALU_DEP_1)
	v_fmac_f32_e32 v5, v6, v5
	v_mul_f32_e32 v6, v7, v5
	s_delay_alu instid0(VALU_DEP_1) | instskip(NEXT) | instid1(VALU_DEP_1)
	v_fma_f32 v8, -v4, v6, v7
	v_fmac_f32_e32 v6, v8, v5
	s_delay_alu instid0(VALU_DEP_1) | instskip(NEXT) | instid1(VALU_DEP_1)
	v_fma_f32 v4, -v4, v6, v7
	v_div_fmas_f32 v4, v4, v5, v6
	s_delay_alu instid0(VALU_DEP_1) | instskip(SKIP_1) | instid1(VALU_DEP_1)
	v_div_fixup_f32 v3, v4, v3, 1.0
	s_waitcnt vmcnt(0)
	v_dual_mul_f32 v2, v3, v2 :: v_dual_lshlrev_b32 v1, 16, v1
	s_delay_alu instid0(VALU_DEP_1) | instskip(NEXT) | instid1(VALU_DEP_1)
	v_dual_mul_f32 v1, v2, v1 :: v_dual_lshlrev_b32 v2, 2, v0
	v_and_b32_e32 v3, 0x7fffffff, v1
	ds_store_b32 v2, v3
	s_waitcnt lgkmcnt(0)
	s_barrier
	buffer_gl0_inv
	v_cmpx_gt_u32_e32 32, v0
	s_cbranch_execz .LBB27_2
; %bb.1:
	ds_load_2addr_b32 v[3:4], v2 offset1:32
	s_waitcnt lgkmcnt(0)
	v_dual_max_f32 v4, v4, v4 :: v_dual_max_f32 v3, v3, v3
	s_delay_alu instid0(VALU_DEP_1)
	v_max_f32_e32 v3, v3, v4
	ds_store_b32 v2, v3
.LBB27_2:
	s_or_b32 exec_lo, exec_lo, s6
	s_delay_alu instid0(SALU_CYCLE_1)
	s_mov_b32 s6, exec_lo
	s_waitcnt lgkmcnt(0)
	s_barrier
	buffer_gl0_inv
	v_cmpx_gt_u32_e32 16, v0
	s_cbranch_execz .LBB27_4
; %bb.3:
	ds_load_2addr_b32 v[3:4], v2 offset1:16
	s_waitcnt lgkmcnt(0)
	v_dual_max_f32 v4, v4, v4 :: v_dual_max_f32 v3, v3, v3
	s_delay_alu instid0(VALU_DEP_1)
	v_max_f32_e32 v3, v3, v4
	ds_store_b32 v2, v3
.LBB27_4:
	s_or_b32 exec_lo, exec_lo, s6
	s_delay_alu instid0(SALU_CYCLE_1)
	s_mov_b32 s6, exec_lo
	;; [unrolled: 16-line block ×4, first 2 shown]
	s_waitcnt lgkmcnt(0)
	s_barrier
	buffer_gl0_inv
	v_cmpx_gt_u32_e32 2, v0
	s_cbranch_execz .LBB27_10
; %bb.9:
	ds_load_2addr_b32 v[3:4], v2 offset1:2
	s_waitcnt lgkmcnt(0)
	v_dual_max_f32 v4, v4, v4 :: v_dual_max_f32 v3, v3, v3
	s_delay_alu instid0(VALU_DEP_1)
	v_max_f32_e32 v3, v3, v4
	ds_store_b32 v2, v3
.LBB27_10:
	s_or_b32 exec_lo, exec_lo, s6
	v_cmp_eq_u32_e32 vcc_lo, 0, v0
	s_waitcnt lgkmcnt(0)
	s_barrier
	buffer_gl0_inv
	s_and_saveexec_b32 s6, vcc_lo
	s_cbranch_execz .LBB27_12
; %bb.11:
	v_mov_b32_e32 v3, 0
	ds_load_b32 v3, v3 offset:4
	ds_load_b32 v4, v2
	s_waitcnt lgkmcnt(0)
	v_dual_max_f32 v3, v3, v3 :: v_dual_max_f32 v4, v4, v4
	s_delay_alu instid0(VALU_DEP_1)
	v_max_f32_e32 v3, v4, v3
	ds_store_b32 v2, v3
.LBB27_12:
	s_or_b32 exec_lo, exec_lo, s6
	s_load_b64 s[6:7], s[0:1], 0x0
	s_waitcnt lgkmcnt(0)
	s_barrier
	buffer_gl0_inv
	s_and_saveexec_b32 s11, vcc_lo
	s_cbranch_execz .LBB27_16
; %bb.13:
	v_mov_b32_e32 v2, 0
	ds_load_b32 v3, v2
	s_clause 0x1
	s_load_b64 s[8:9], s[0:1], 0x18
	s_load_b64 s[0:1], s[0:1], 0x8
	s_waitcnt lgkmcnt(0)
	s_cmp_eq_u64 s[8:9], 0
	v_div_scale_f32 v4, null, 0x43e00000, 0x43e00000, v3
	s_delay_alu instid0(VALU_DEP_1) | instskip(SKIP_2) | instid1(VALU_DEP_1)
	v_rcp_f32_e32 v5, v4
	s_waitcnt_depctr 0xfff
	v_fma_f32 v6, -v4, v5, 1.0
	v_fmac_f32_e32 v5, v6, v5
	v_div_scale_f32 v6, vcc_lo, v3, 0x43e00000, v3
	s_delay_alu instid0(VALU_DEP_1) | instskip(NEXT) | instid1(VALU_DEP_1)
	v_mul_f32_e32 v7, v6, v5
	v_fma_f32 v8, -v4, v7, v6
	s_delay_alu instid0(VALU_DEP_1) | instskip(NEXT) | instid1(VALU_DEP_1)
	v_fmac_f32_e32 v7, v8, v5
	v_fma_f32 v4, -v4, v7, v6
	s_delay_alu instid0(VALU_DEP_1) | instskip(NEXT) | instid1(VALU_DEP_1)
	v_div_fmas_f32 v4, v4, v5, v7
	v_div_fixup_f32 v3, v4, 0x43e00000, v3
	s_cbranch_scc1 .LBB27_15
; %bb.14:
	s_load_b32 s8, s[8:9], 0x0
	s_delay_alu instid0(VALU_DEP_1) | instskip(SKIP_2) | instid1(VALU_DEP_1)
	v_max_f32_e32 v3, v3, v3
	s_waitcnt lgkmcnt(0)
	v_max_f32_e64 v4, s8, s8
	v_min_f32_e32 v3, v3, v4
.LBB27_15:
	s_mul_i32 s8, s5, s14
	s_delay_alu instid0(VALU_DEP_1) | instskip(SKIP_3) | instid1(VALU_DEP_1)
	v_max_f32_e32 v3, v3, v3
	s_ashr_i32 s9, s8, 31
	s_ashr_i32 s5, s4, 31
	s_lshl_b64 s[8:9], s[8:9], 2
	v_max_f32_e32 v3, 0x36924925, v3
	s_add_u32 s8, s0, s8
	s_addc_u32 s9, s1, s9
	s_lshl_b64 s[0:1], s[4:5], 2
	s_delay_alu instid0(SALU_CYCLE_1)
	s_add_u32 s0, s8, s0
	s_addc_u32 s1, s9, s1
	ds_store_b32 v2, v3
	global_store_b32 v2, v3, s[0:1]
.LBB27_16:
	s_or_b32 exec_lo, exec_lo, s11
	v_mov_b32_e32 v2, 0
	s_waitcnt lgkmcnt(0)
	s_waitcnt_vscnt null, 0x0
	s_barrier
	buffer_gl0_inv
	s_mov_b32 s0, 0x43e00000
	ds_load_b32 v2, v2
	s_waitcnt lgkmcnt(0)
	v_div_scale_f32 v3, null, v2, v2, v1
	v_div_scale_f32 v6, vcc_lo, v1, v2, v1
	s_delay_alu instid0(VALU_DEP_2) | instskip(SKIP_2) | instid1(VALU_DEP_1)
	v_rcp_f32_e32 v4, v3
	s_waitcnt_depctr 0xfff
	v_fma_f32 v5, -v3, v4, 1.0
	v_fmac_f32_e32 v4, v5, v4
	s_delay_alu instid0(VALU_DEP_1) | instskip(NEXT) | instid1(VALU_DEP_1)
	v_mul_f32_e32 v5, v6, v4
	v_fma_f32 v7, -v3, v5, v6
	s_delay_alu instid0(VALU_DEP_1) | instskip(NEXT) | instid1(VALU_DEP_1)
	v_fmac_f32_e32 v5, v7, v4
	v_fma_f32 v3, -v3, v5, v6
	s_delay_alu instid0(VALU_DEP_1) | instskip(NEXT) | instid1(VALU_DEP_1)
	v_div_fmas_f32 v3, v3, v4, v5
	v_div_fixup_f32 v1, v3, v2, v1
	v_mov_b32_e32 v2, 0x7f
	s_delay_alu instid0(VALU_DEP_2) | instskip(SKIP_1) | instid1(VALU_DEP_1)
	v_minmax_f32 v1, v1, s0, 0xc3e00000
	s_mov_b32 s0, exec_lo
	v_and_b32_e32 v3, 0x7fffffff, v1
	s_delay_alu instid0(VALU_DEP_1)
	v_cmpx_gt_u32_e32 0x43f00000, v3
	s_cbranch_execz .LBB27_22
; %bb.17:
	s_mov_b32 s1, exec_lo
                                        ; implicit-def: $vgpr2
	v_cmpx_lt_u32_e32 0x3c7fffff, v3
	s_xor_b32 s1, exec_lo, s1
; %bb.18:
	v_bfe_u32 v2, v1, 20, 1
	s_delay_alu instid0(VALU_DEP_1) | instskip(NEXT) | instid1(VALU_DEP_1)
	v_add3_u32 v2, v1, v2, 0x407ffff
	v_lshrrev_b32_e32 v2, 20, v2
; %bb.19:
	s_and_not1_saveexec_b32 s1, s1
; %bb.20:
	v_add_f32_e64 v2, 0x46800000, |v1|
; %bb.21:
	s_or_b32 exec_lo, exec_lo, s1
.LBB27_22:
	s_delay_alu instid0(SALU_CYCLE_1)
	s_or_b32 exec_lo, exec_lo, s0
	s_ashr_i32 s0, s10, 31
	s_add_u32 s1, s6, s10
	v_lshrrev_b32_e32 v1, 24, v1
	s_addc_u32 s0, s7, s0
	s_add_u32 s1, s1, s2
	s_addc_u32 s0, s0, s3
	v_add_co_u32 v0, s1, s1, v0
	v_and_or_b32 v2, 0x80, v1, v2
	v_add_co_ci_u32_e64 v1, null, s0, 0, s1
	global_store_b8 v[0:1], v2, off
	s_nop 0
	s_sendmsg sendmsg(MSG_DEALLOC_VGPRS)
	s_endpgm
	.section	.rodata,"a",@progbits
	.p2align	6, 0x0
	.amdhsa_kernel _ZN4vllm35silu_and_mul_per_block_quant_kernelIN3c108BFloat16ENS1_13Float8_e4m3fnELb0ELi64EEEvPT0_PfPKT_PKfi
		.amdhsa_group_segment_fixed_size 256
		.amdhsa_private_segment_fixed_size 0
		.amdhsa_kernarg_size 296
		.amdhsa_user_sgpr_count 14
		.amdhsa_user_sgpr_dispatch_ptr 0
		.amdhsa_user_sgpr_queue_ptr 0
		.amdhsa_user_sgpr_kernarg_segment_ptr 1
		.amdhsa_user_sgpr_dispatch_id 0
		.amdhsa_user_sgpr_private_segment_size 0
		.amdhsa_wavefront_size32 1
		.amdhsa_uses_dynamic_stack 0
		.amdhsa_enable_private_segment 0
		.amdhsa_system_sgpr_workgroup_id_x 1
		.amdhsa_system_sgpr_workgroup_id_y 1
		.amdhsa_system_sgpr_workgroup_id_z 0
		.amdhsa_system_sgpr_workgroup_info 0
		.amdhsa_system_vgpr_workitem_id 0
		.amdhsa_next_free_vgpr 9
		.amdhsa_next_free_sgpr 16
		.amdhsa_reserve_vcc 1
		.amdhsa_float_round_mode_32 0
		.amdhsa_float_round_mode_16_64 0
		.amdhsa_float_denorm_mode_32 3
		.amdhsa_float_denorm_mode_16_64 3
		.amdhsa_dx10_clamp 1
		.amdhsa_ieee_mode 1
		.amdhsa_fp16_overflow 0
		.amdhsa_workgroup_processor_mode 1
		.amdhsa_memory_ordered 1
		.amdhsa_forward_progress 0
		.amdhsa_shared_vgpr_count 0
		.amdhsa_exception_fp_ieee_invalid_op 0
		.amdhsa_exception_fp_denorm_src 0
		.amdhsa_exception_fp_ieee_div_zero 0
		.amdhsa_exception_fp_ieee_overflow 0
		.amdhsa_exception_fp_ieee_underflow 0
		.amdhsa_exception_fp_ieee_inexact 0
		.amdhsa_exception_int_div_zero 0
	.end_amdhsa_kernel
	.section	.text._ZN4vllm35silu_and_mul_per_block_quant_kernelIN3c108BFloat16ENS1_13Float8_e4m3fnELb0ELi64EEEvPT0_PfPKT_PKfi,"axG",@progbits,_ZN4vllm35silu_and_mul_per_block_quant_kernelIN3c108BFloat16ENS1_13Float8_e4m3fnELb0ELi64EEEvPT0_PfPKT_PKfi,comdat
.Lfunc_end27:
	.size	_ZN4vllm35silu_and_mul_per_block_quant_kernelIN3c108BFloat16ENS1_13Float8_e4m3fnELb0ELi64EEEvPT0_PfPKT_PKfi, .Lfunc_end27-_ZN4vllm35silu_and_mul_per_block_quant_kernelIN3c108BFloat16ENS1_13Float8_e4m3fnELb0ELi64EEEvPT0_PfPKT_PKfi
                                        ; -- End function
	.section	.AMDGPU.csdata,"",@progbits
; Kernel info:
; codeLenInByte = 1436
; NumSgprs: 18
; NumVgprs: 9
; ScratchSize: 0
; MemoryBound: 0
; FloatMode: 240
; IeeeMode: 1
; LDSByteSize: 256 bytes/workgroup (compile time only)
; SGPRBlocks: 2
; VGPRBlocks: 1
; NumSGPRsForWavesPerEU: 18
; NumVGPRsForWavesPerEU: 9
; Occupancy: 16
; WaveLimiterHint : 0
; COMPUTE_PGM_RSRC2:SCRATCH_EN: 0
; COMPUTE_PGM_RSRC2:USER_SGPR: 14
; COMPUTE_PGM_RSRC2:TRAP_HANDLER: 0
; COMPUTE_PGM_RSRC2:TGID_X_EN: 1
; COMPUTE_PGM_RSRC2:TGID_Y_EN: 1
; COMPUTE_PGM_RSRC2:TGID_Z_EN: 0
; COMPUTE_PGM_RSRC2:TIDIG_COMP_CNT: 0
	.section	.text._ZN4vllm35silu_and_mul_per_block_quant_kernelIN3c108BFloat16ENS1_15Float8_e4m3fnuzELb1ELi128EEEvPT0_PfPKT_PKfi,"axG",@progbits,_ZN4vllm35silu_and_mul_per_block_quant_kernelIN3c108BFloat16ENS1_15Float8_e4m3fnuzELb1ELi128EEEvPT0_PfPKT_PKfi,comdat
	.protected	_ZN4vllm35silu_and_mul_per_block_quant_kernelIN3c108BFloat16ENS1_15Float8_e4m3fnuzELb1ELi128EEEvPT0_PfPKT_PKfi ; -- Begin function _ZN4vllm35silu_and_mul_per_block_quant_kernelIN3c108BFloat16ENS1_15Float8_e4m3fnuzELb1ELi128EEEvPT0_PfPKT_PKfi
	.globl	_ZN4vllm35silu_and_mul_per_block_quant_kernelIN3c108BFloat16ENS1_15Float8_e4m3fnuzELb1ELi128EEEvPT0_PfPKT_PKfi
	.p2align	8
	.type	_ZN4vllm35silu_and_mul_per_block_quant_kernelIN3c108BFloat16ENS1_15Float8_e4m3fnuzELb1ELi128EEEvPT0_PfPKT_PKfi,@function
_ZN4vllm35silu_and_mul_per_block_quant_kernelIN3c108BFloat16ENS1_15Float8_e4m3fnuzELb1ELi128EEEvPT0_PfPKT_PKfi: ; @_ZN4vllm35silu_and_mul_per_block_quant_kernelIN3c108BFloat16ENS1_15Float8_e4m3fnuzELb1ELi128EEEvPT0_PfPKT_PKfi
; %bb.0:
	s_clause 0x2
	s_load_b32 s4, s[0:1], 0x20
	s_load_b64 s[8:9], s[0:1], 0x10
	s_load_b32 s3, s[0:1], 0x28
	s_lshl_b32 s6, s15, 7
	v_lshlrev_b32_e32 v1, 1, v0
	s_mov_b32 s2, s15
	s_waitcnt lgkmcnt(0)
	s_mul_i32 s5, s14, s4
	s_delay_alu instid0(SALU_CYCLE_1) | instskip(SKIP_2) | instid1(SALU_CYCLE_1)
	s_lshl_b32 s10, s5, 1
	s_ashr_i32 s5, s4, 31
	s_ashr_i32 s11, s10, 31
	s_lshl_b64 s[10:11], s[10:11], 1
	s_delay_alu instid0(SALU_CYCLE_1) | instskip(SKIP_2) | instid1(SALU_CYCLE_1)
	s_add_u32 s10, s8, s10
	s_addc_u32 s11, s9, s11
	s_ashr_i32 s7, s6, 31
	s_lshl_b64 s[8:9], s[6:7], 1
	s_delay_alu instid0(SALU_CYCLE_1)
	s_add_u32 s8, s10, s8
	s_addc_u32 s9, s11, s9
	s_lshl_b64 s[10:11], s[4:5], 1
	global_load_u16 v2, v1, s[8:9]
	s_add_u32 s8, s8, s10
	s_addc_u32 s9, s9, s11
	s_mov_b32 s5, exec_lo
	s_waitcnt vmcnt(0)
	v_lshlrev_b32_e32 v2, 16, v2
	s_delay_alu instid0(VALU_DEP_1) | instskip(NEXT) | instid1(VALU_DEP_1)
	v_mul_f32_e32 v3, 0xbfb8aa3b, v2
	v_fma_f32 v4, 0xbfb8aa3b, v2, -v3
	v_rndne_f32_e32 v5, v3
	s_delay_alu instid0(VALU_DEP_1) | instskip(SKIP_4) | instid1(VALU_DEP_2)
	v_dual_sub_f32 v3, v3, v5 :: v_dual_fmamk_f32 v4, v2, 0xb2a5705f, v4
	global_load_u16 v1, v1, s[8:9]
	v_cmp_nlt_f32_e32 vcc_lo, 0x42ce8ed0, v2
	v_add_f32_e32 v3, v3, v4
	v_cvt_i32_f32_e32 v4, v5
	v_exp_f32_e32 v3, v3
	s_waitcnt_depctr 0xfff
	v_ldexp_f32 v3, v3, v4
	s_delay_alu instid0(VALU_DEP_1) | instskip(SKIP_1) | instid1(VALU_DEP_2)
	v_cndmask_b32_e32 v3, 0, v3, vcc_lo
	v_cmp_ngt_f32_e32 vcc_lo, 0xc2b17218, v2
	v_cndmask_b32_e32 v3, 0x7f800000, v3, vcc_lo
	s_delay_alu instid0(VALU_DEP_1) | instskip(NEXT) | instid1(VALU_DEP_1)
	v_add_f32_e32 v3, 1.0, v3
	v_div_scale_f32 v4, null, v3, v3, 1.0
	v_div_scale_f32 v7, vcc_lo, 1.0, v3, 1.0
	s_delay_alu instid0(VALU_DEP_2) | instskip(SKIP_2) | instid1(VALU_DEP_1)
	v_rcp_f32_e32 v5, v4
	s_waitcnt_depctr 0xfff
	v_fma_f32 v6, -v4, v5, 1.0
	v_fmac_f32_e32 v5, v6, v5
	s_delay_alu instid0(VALU_DEP_1) | instskip(NEXT) | instid1(VALU_DEP_1)
	v_mul_f32_e32 v6, v7, v5
	v_fma_f32 v8, -v4, v6, v7
	s_delay_alu instid0(VALU_DEP_1) | instskip(NEXT) | instid1(VALU_DEP_1)
	v_fmac_f32_e32 v6, v8, v5
	v_fma_f32 v4, -v4, v6, v7
	s_delay_alu instid0(VALU_DEP_1) | instskip(NEXT) | instid1(VALU_DEP_1)
	v_div_fmas_f32 v4, v4, v5, v6
	v_div_fixup_f32 v3, v4, v3, 1.0
	s_waitcnt vmcnt(0)
	s_delay_alu instid0(VALU_DEP_1) | instskip(NEXT) | instid1(VALU_DEP_1)
	v_dual_mul_f32 v2, v3, v2 :: v_dual_lshlrev_b32 v1, 16, v1
	v_dual_mul_f32 v1, v2, v1 :: v_dual_lshlrev_b32 v2, 2, v0
	s_delay_alu instid0(VALU_DEP_1)
	v_and_b32_e32 v3, 0x7fffffff, v1
	ds_store_b32 v2, v3
	s_waitcnt lgkmcnt(0)
	s_barrier
	buffer_gl0_inv
	v_cmpx_gt_u32_e32 64, v0
	s_cbranch_execz .LBB28_2
; %bb.1:
	ds_load_2addr_stride64_b32 v[3:4], v2 offset1:1
	s_waitcnt lgkmcnt(0)
	v_dual_max_f32 v4, v4, v4 :: v_dual_max_f32 v3, v3, v3
	s_delay_alu instid0(VALU_DEP_1)
	v_max_f32_e32 v3, v3, v4
	ds_store_b32 v2, v3
.LBB28_2:
	s_or_b32 exec_lo, exec_lo, s5
	s_delay_alu instid0(SALU_CYCLE_1)
	s_mov_b32 s5, exec_lo
	s_waitcnt lgkmcnt(0)
	s_barrier
	buffer_gl0_inv
	v_cmpx_gt_u32_e32 32, v0
	s_cbranch_execz .LBB28_4
; %bb.3:
	ds_load_2addr_b32 v[3:4], v2 offset1:32
	s_waitcnt lgkmcnt(0)
	v_dual_max_f32 v4, v4, v4 :: v_dual_max_f32 v3, v3, v3
	s_delay_alu instid0(VALU_DEP_1)
	v_max_f32_e32 v3, v3, v4
	ds_store_b32 v2, v3
.LBB28_4:
	s_or_b32 exec_lo, exec_lo, s5
	s_delay_alu instid0(SALU_CYCLE_1)
	s_mov_b32 s5, exec_lo
	s_waitcnt lgkmcnt(0)
	s_barrier
	buffer_gl0_inv
	v_cmpx_gt_u32_e32 16, v0
	s_cbranch_execz .LBB28_6
; %bb.5:
	ds_load_2addr_b32 v[3:4], v2 offset1:16
	s_waitcnt lgkmcnt(0)
	v_dual_max_f32 v4, v4, v4 :: v_dual_max_f32 v3, v3, v3
	s_delay_alu instid0(VALU_DEP_1)
	v_max_f32_e32 v3, v3, v4
	ds_store_b32 v2, v3
.LBB28_6:
	;; [unrolled: 16-line block ×5, first 2 shown]
	s_or_b32 exec_lo, exec_lo, s5
	v_cmp_eq_u32_e32 vcc_lo, 0, v0
	s_waitcnt lgkmcnt(0)
	s_barrier
	buffer_gl0_inv
	s_and_saveexec_b32 s5, vcc_lo
	s_cbranch_execz .LBB28_14
; %bb.13:
	v_mov_b32_e32 v3, 0
	ds_load_b32 v3, v3 offset:4
	ds_load_b32 v4, v2
	s_waitcnt lgkmcnt(0)
	v_dual_max_f32 v3, v3, v3 :: v_dual_max_f32 v4, v4, v4
	s_delay_alu instid0(VALU_DEP_1)
	v_max_f32_e32 v3, v4, v3
	ds_store_b32 v2, v3
.LBB28_14:
	s_or_b32 exec_lo, exec_lo, s5
	s_load_b64 s[8:9], s[0:1], 0x0
	s_ashr_i32 s15, s14, 31
	s_waitcnt lgkmcnt(0)
	s_barrier
	buffer_gl0_inv
	s_and_saveexec_b32 s5, vcc_lo
	s_cbranch_execz .LBB28_18
; %bb.15:
	v_mov_b32_e32 v2, 0
	ds_load_b32 v3, v2
	s_clause 0x1
	s_load_b64 s[10:11], s[0:1], 0x18
	s_load_b64 s[0:1], s[0:1], 0x8
	s_waitcnt lgkmcnt(0)
	s_cmp_eq_u64 s[10:11], 0
	v_div_scale_f32 v4, null, 0x43600000, 0x43600000, v3
	s_delay_alu instid0(VALU_DEP_1) | instskip(SKIP_2) | instid1(VALU_DEP_1)
	v_rcp_f32_e32 v5, v4
	s_waitcnt_depctr 0xfff
	v_fma_f32 v6, -v4, v5, 1.0
	v_fmac_f32_e32 v5, v6, v5
	v_div_scale_f32 v6, vcc_lo, v3, 0x43600000, v3
	s_delay_alu instid0(VALU_DEP_1) | instskip(NEXT) | instid1(VALU_DEP_1)
	v_mul_f32_e32 v7, v6, v5
	v_fma_f32 v8, -v4, v7, v6
	s_delay_alu instid0(VALU_DEP_1) | instskip(NEXT) | instid1(VALU_DEP_1)
	v_fmac_f32_e32 v7, v8, v5
	v_fma_f32 v4, -v4, v7, v6
	s_delay_alu instid0(VALU_DEP_1) | instskip(NEXT) | instid1(VALU_DEP_1)
	v_div_fmas_f32 v4, v4, v5, v7
	v_div_fixup_f32 v3, v4, 0x43600000, v3
	s_cbranch_scc1 .LBB28_17
; %bb.16:
	s_load_b32 s10, s[10:11], 0x0
	s_delay_alu instid0(VALU_DEP_1) | instskip(SKIP_2) | instid1(VALU_DEP_1)
	v_max_f32_e32 v3, v3, v3
	s_waitcnt lgkmcnt(0)
	v_max_f32_e64 v4, s10, s10
	v_min_f32_e32 v3, v3, v4
.LBB28_17:
	s_mul_i32 s2, s3, s2
	s_delay_alu instid0(VALU_DEP_1) | instskip(SKIP_1) | instid1(SALU_CYCLE_1)
	v_max_f32_e32 v3, v3, v3
	s_ashr_i32 s3, s2, 31
	s_lshl_b64 s[2:3], s[2:3], 2
	s_delay_alu instid0(VALU_DEP_1) | instskip(SKIP_3) | instid1(SALU_CYCLE_1)
	v_max_f32_e32 v3, 0x37124925, v3
	s_add_u32 s2, s0, s2
	s_addc_u32 s3, s1, s3
	s_lshl_b64 s[0:1], s[14:15], 2
	s_add_u32 s0, s2, s0
	s_addc_u32 s1, s3, s1
	ds_store_b32 v2, v3
	global_store_b32 v2, v3, s[0:1]
.LBB28_18:
	s_or_b32 exec_lo, exec_lo, s5
	v_mov_b32_e32 v2, 0
	s_waitcnt lgkmcnt(0)
	s_waitcnt_vscnt null, 0x0
	s_barrier
	buffer_gl0_inv
	s_mov_b32 s0, 0x43600000
	ds_load_b32 v2, v2
	s_waitcnt lgkmcnt(0)
	v_div_scale_f32 v3, null, v2, v2, v1
	v_div_scale_f32 v6, vcc_lo, v1, v2, v1
	s_delay_alu instid0(VALU_DEP_2) | instskip(SKIP_2) | instid1(VALU_DEP_1)
	v_rcp_f32_e32 v4, v3
	s_waitcnt_depctr 0xfff
	v_fma_f32 v5, -v3, v4, 1.0
	v_fmac_f32_e32 v4, v5, v4
	s_delay_alu instid0(VALU_DEP_1) | instskip(NEXT) | instid1(VALU_DEP_1)
	v_mul_f32_e32 v5, v6, v4
	v_fma_f32 v7, -v3, v5, v6
	s_delay_alu instid0(VALU_DEP_1) | instskip(NEXT) | instid1(VALU_DEP_1)
	v_fmac_f32_e32 v5, v7, v4
	v_fma_f32 v3, -v3, v5, v6
	s_delay_alu instid0(VALU_DEP_1) | instskip(NEXT) | instid1(VALU_DEP_1)
	v_div_fmas_f32 v3, v3, v4, v5
	v_div_fixup_f32 v1, v3, v2, v1
	v_mov_b32_e32 v3, 0x80
	s_delay_alu instid0(VALU_DEP_2) | instskip(SKIP_1) | instid1(VALU_DEP_1)
	v_minmax_f32 v1, v1, s0, 0xc3600000
	s_mov_b32 s0, exec_lo
	v_and_b32_e32 v2, 0x7fffffff, v1
	s_delay_alu instid0(VALU_DEP_1)
	v_cmpx_gt_u32_e32 0x43800000, v2
	s_cbranch_execz .LBB28_24
; %bb.19:
	v_cmp_lt_u32_e32 vcc_lo, 0x3bffffff, v2
	s_mov_b32 s1, 0
                                        ; implicit-def: $vgpr2
	s_and_saveexec_b32 s2, vcc_lo
	s_delay_alu instid0(SALU_CYCLE_1)
	s_xor_b32 s2, exec_lo, s2
	s_cbranch_execnz .LBB28_25
; %bb.20:
	s_or_saveexec_b32 s2, s2
                                        ; implicit-def: $sgpr3
	s_delay_alu instid0(SALU_CYCLE_1)
	s_xor_b32 exec_lo, exec_lo, s2
	s_cbranch_execnz .LBB28_26
.LBB28_21:
	s_or_b32 exec_lo, exec_lo, s2
	v_mov_b32_e32 v3, s3
	s_and_saveexec_b32 s2, s1
.LBB28_22:
	v_lshrrev_b32_e32 v1, 24, v1
	s_delay_alu instid0(VALU_DEP_1)
	v_and_or_b32 v3, 0x80, v1, v2
.LBB28_23:
	s_or_b32 exec_lo, exec_lo, s2
.LBB28_24:
	s_delay_alu instid0(SALU_CYCLE_1) | instskip(SKIP_1) | instid1(SALU_CYCLE_1)
	s_or_b32 exec_lo, exec_lo, s0
	s_mul_i32 s0, s14, s4
	s_ashr_i32 s1, s0, 31
	s_add_u32 s0, s8, s0
	s_addc_u32 s1, s9, s1
	s_add_u32 s0, s0, s6
	s_addc_u32 s1, s1, s7
	v_add_co_u32 v0, s0, s0, v0
	s_delay_alu instid0(VALU_DEP_1)
	v_add_co_ci_u32_e64 v1, null, s1, 0, s0
	global_store_b8 v[0:1], v3, off
	s_nop 0
	s_sendmsg sendmsg(MSG_DEALLOC_VGPRS)
	s_endpgm
.LBB28_25:
	v_bfe_u32 v2, v1, 20, 1
	s_mov_b32 s1, exec_lo
	s_delay_alu instid0(VALU_DEP_1) | instskip(NEXT) | instid1(VALU_DEP_1)
	v_add3_u32 v2, v1, v2, 0x487ffff
	v_lshrrev_b32_e32 v2, 20, v2
	s_or_saveexec_b32 s2, s2
                                        ; implicit-def: $sgpr3
	s_delay_alu instid0(SALU_CYCLE_1)
	s_xor_b32 exec_lo, exec_lo, s2
	s_cbranch_execz .LBB28_21
.LBB28_26:
	v_add_f32_e64 v2, 0x46000000, |v1|
	s_and_not1_b32 s1, s1, exec_lo
	s_mov_b32 s3, 0
	s_delay_alu instid0(VALU_DEP_1) | instskip(NEXT) | instid1(VALU_DEP_1)
	v_and_b32_e32 v2, 0xff, v2
	v_cmp_ne_u32_e32 vcc_lo, 0, v2
	s_and_b32 s5, vcc_lo, exec_lo
	s_delay_alu instid0(SALU_CYCLE_1)
	s_or_b32 s1, s1, s5
	s_or_b32 exec_lo, exec_lo, s2
	v_mov_b32_e32 v3, s3
	s_and_saveexec_b32 s2, s1
	s_cbranch_execnz .LBB28_22
	s_branch .LBB28_23
	.section	.rodata,"a",@progbits
	.p2align	6, 0x0
	.amdhsa_kernel _ZN4vllm35silu_and_mul_per_block_quant_kernelIN3c108BFloat16ENS1_15Float8_e4m3fnuzELb1ELi128EEEvPT0_PfPKT_PKfi
		.amdhsa_group_segment_fixed_size 512
		.amdhsa_private_segment_fixed_size 0
		.amdhsa_kernarg_size 296
		.amdhsa_user_sgpr_count 14
		.amdhsa_user_sgpr_dispatch_ptr 0
		.amdhsa_user_sgpr_queue_ptr 0
		.amdhsa_user_sgpr_kernarg_segment_ptr 1
		.amdhsa_user_sgpr_dispatch_id 0
		.amdhsa_user_sgpr_private_segment_size 0
		.amdhsa_wavefront_size32 1
		.amdhsa_uses_dynamic_stack 0
		.amdhsa_enable_private_segment 0
		.amdhsa_system_sgpr_workgroup_id_x 1
		.amdhsa_system_sgpr_workgroup_id_y 1
		.amdhsa_system_sgpr_workgroup_id_z 0
		.amdhsa_system_sgpr_workgroup_info 0
		.amdhsa_system_vgpr_workitem_id 0
		.amdhsa_next_free_vgpr 9
		.amdhsa_next_free_sgpr 16
		.amdhsa_reserve_vcc 1
		.amdhsa_float_round_mode_32 0
		.amdhsa_float_round_mode_16_64 0
		.amdhsa_float_denorm_mode_32 3
		.amdhsa_float_denorm_mode_16_64 3
		.amdhsa_dx10_clamp 1
		.amdhsa_ieee_mode 1
		.amdhsa_fp16_overflow 0
		.amdhsa_workgroup_processor_mode 1
		.amdhsa_memory_ordered 1
		.amdhsa_forward_progress 0
		.amdhsa_shared_vgpr_count 0
		.amdhsa_exception_fp_ieee_invalid_op 0
		.amdhsa_exception_fp_denorm_src 0
		.amdhsa_exception_fp_ieee_div_zero 0
		.amdhsa_exception_fp_ieee_overflow 0
		.amdhsa_exception_fp_ieee_underflow 0
		.amdhsa_exception_fp_ieee_inexact 0
		.amdhsa_exception_int_div_zero 0
	.end_amdhsa_kernel
	.section	.text._ZN4vllm35silu_and_mul_per_block_quant_kernelIN3c108BFloat16ENS1_15Float8_e4m3fnuzELb1ELi128EEEvPT0_PfPKT_PKfi,"axG",@progbits,_ZN4vllm35silu_and_mul_per_block_quant_kernelIN3c108BFloat16ENS1_15Float8_e4m3fnuzELb1ELi128EEEvPT0_PfPKT_PKfi,comdat
.Lfunc_end28:
	.size	_ZN4vllm35silu_and_mul_per_block_quant_kernelIN3c108BFloat16ENS1_15Float8_e4m3fnuzELb1ELi128EEEvPT0_PfPKT_PKfi, .Lfunc_end28-_ZN4vllm35silu_and_mul_per_block_quant_kernelIN3c108BFloat16ENS1_15Float8_e4m3fnuzELb1ELi128EEEvPT0_PfPKT_PKfi
                                        ; -- End function
	.section	.AMDGPU.csdata,"",@progbits
; Kernel info:
; codeLenInByte = 1632
; NumSgprs: 18
; NumVgprs: 9
; ScratchSize: 0
; MemoryBound: 0
; FloatMode: 240
; IeeeMode: 1
; LDSByteSize: 512 bytes/workgroup (compile time only)
; SGPRBlocks: 2
; VGPRBlocks: 1
; NumSGPRsForWavesPerEU: 18
; NumVGPRsForWavesPerEU: 9
; Occupancy: 16
; WaveLimiterHint : 0
; COMPUTE_PGM_RSRC2:SCRATCH_EN: 0
; COMPUTE_PGM_RSRC2:USER_SGPR: 14
; COMPUTE_PGM_RSRC2:TRAP_HANDLER: 0
; COMPUTE_PGM_RSRC2:TGID_X_EN: 1
; COMPUTE_PGM_RSRC2:TGID_Y_EN: 1
; COMPUTE_PGM_RSRC2:TGID_Z_EN: 0
; COMPUTE_PGM_RSRC2:TIDIG_COMP_CNT: 0
	.section	.text._ZN4vllm35silu_and_mul_per_block_quant_kernelIN3c108BFloat16ENS1_15Float8_e4m3fnuzELb0ELi128EEEvPT0_PfPKT_PKfi,"axG",@progbits,_ZN4vllm35silu_and_mul_per_block_quant_kernelIN3c108BFloat16ENS1_15Float8_e4m3fnuzELb0ELi128EEEvPT0_PfPKT_PKfi,comdat
	.protected	_ZN4vllm35silu_and_mul_per_block_quant_kernelIN3c108BFloat16ENS1_15Float8_e4m3fnuzELb0ELi128EEEvPT0_PfPKT_PKfi ; -- Begin function _ZN4vllm35silu_and_mul_per_block_quant_kernelIN3c108BFloat16ENS1_15Float8_e4m3fnuzELb0ELi128EEEvPT0_PfPKT_PKfi
	.globl	_ZN4vllm35silu_and_mul_per_block_quant_kernelIN3c108BFloat16ENS1_15Float8_e4m3fnuzELb0ELi128EEEvPT0_PfPKT_PKfi
	.p2align	8
	.type	_ZN4vllm35silu_and_mul_per_block_quant_kernelIN3c108BFloat16ENS1_15Float8_e4m3fnuzELb0ELi128EEEvPT0_PfPKT_PKfi,@function
_ZN4vllm35silu_and_mul_per_block_quant_kernelIN3c108BFloat16ENS1_15Float8_e4m3fnuzELb0ELi128EEEvPT0_PfPKT_PKfi: ; @_ZN4vllm35silu_and_mul_per_block_quant_kernelIN3c108BFloat16ENS1_15Float8_e4m3fnuzELb0ELi128EEEvPT0_PfPKT_PKfi
; %bb.0:
	s_clause 0x2
	s_load_b32 s6, s[0:1], 0x20
	s_load_b64 s[8:9], s[0:1], 0x10
	s_load_b32 s5, s[0:1], 0x2c
	s_lshl_b32 s2, s15, 7
	v_lshlrev_b32_e32 v1, 1, v0
	s_mov_b32 s4, s15
	s_waitcnt lgkmcnt(0)
	s_mul_i32 s10, s14, s6
	s_ashr_i32 s7, s6, 31
	s_lshl_b32 s12, s10, 1
	s_delay_alu instid0(SALU_CYCLE_1) | instskip(NEXT) | instid1(SALU_CYCLE_1)
	s_ashr_i32 s13, s12, 31
	s_lshl_b64 s[12:13], s[12:13], 1
	s_delay_alu instid0(SALU_CYCLE_1) | instskip(SKIP_2) | instid1(SALU_CYCLE_1)
	s_add_u32 s11, s8, s12
	s_addc_u32 s12, s9, s13
	s_ashr_i32 s3, s2, 31
	s_lshl_b64 s[8:9], s[2:3], 1
	s_delay_alu instid0(SALU_CYCLE_1)
	s_add_u32 s8, s11, s8
	s_addc_u32 s9, s12, s9
	s_lshl_b64 s[6:7], s[6:7], 1
	global_load_u16 v2, v1, s[8:9]
	s_add_u32 s6, s8, s6
	s_addc_u32 s7, s9, s7
	s_waitcnt vmcnt(0)
	v_lshlrev_b32_e32 v2, 16, v2
	s_delay_alu instid0(VALU_DEP_1) | instskip(NEXT) | instid1(VALU_DEP_1)
	v_mul_f32_e32 v3, 0xbfb8aa3b, v2
	v_fma_f32 v4, 0xbfb8aa3b, v2, -v3
	v_rndne_f32_e32 v5, v3
	s_delay_alu instid0(VALU_DEP_1)
	v_dual_sub_f32 v3, v3, v5 :: v_dual_fmamk_f32 v4, v2, 0xb2a5705f, v4
	global_load_u16 v1, v1, s[6:7]
	v_cmp_nlt_f32_e32 vcc_lo, 0x42ce8ed0, v2
	s_mov_b32 s6, exec_lo
	v_add_f32_e32 v3, v3, v4
	v_cvt_i32_f32_e32 v4, v5
	s_delay_alu instid0(VALU_DEP_2) | instskip(SKIP_2) | instid1(VALU_DEP_1)
	v_exp_f32_e32 v3, v3
	s_waitcnt_depctr 0xfff
	v_ldexp_f32 v3, v3, v4
	v_cndmask_b32_e32 v3, 0, v3, vcc_lo
	v_cmp_ngt_f32_e32 vcc_lo, 0xc2b17218, v2
	s_delay_alu instid0(VALU_DEP_2) | instskip(NEXT) | instid1(VALU_DEP_1)
	v_cndmask_b32_e32 v3, 0x7f800000, v3, vcc_lo
	v_add_f32_e32 v3, 1.0, v3
	s_delay_alu instid0(VALU_DEP_1) | instskip(SKIP_1) | instid1(VALU_DEP_2)
	v_div_scale_f32 v4, null, v3, v3, 1.0
	v_div_scale_f32 v7, vcc_lo, 1.0, v3, 1.0
	v_rcp_f32_e32 v5, v4
	s_waitcnt_depctr 0xfff
	v_fma_f32 v6, -v4, v5, 1.0
	s_delay_alu instid0(VALU_DEP_1) | instskip(NEXT) | instid1(VALU_DEP_1)
	v_fmac_f32_e32 v5, v6, v5
	v_mul_f32_e32 v6, v7, v5
	s_delay_alu instid0(VALU_DEP_1) | instskip(NEXT) | instid1(VALU_DEP_1)
	v_fma_f32 v8, -v4, v6, v7
	v_fmac_f32_e32 v6, v8, v5
	s_delay_alu instid0(VALU_DEP_1) | instskip(NEXT) | instid1(VALU_DEP_1)
	v_fma_f32 v4, -v4, v6, v7
	v_div_fmas_f32 v4, v4, v5, v6
	s_delay_alu instid0(VALU_DEP_1) | instskip(SKIP_1) | instid1(VALU_DEP_1)
	v_div_fixup_f32 v3, v4, v3, 1.0
	s_waitcnt vmcnt(0)
	v_dual_mul_f32 v2, v3, v2 :: v_dual_lshlrev_b32 v1, 16, v1
	s_delay_alu instid0(VALU_DEP_1) | instskip(NEXT) | instid1(VALU_DEP_1)
	v_dual_mul_f32 v1, v2, v1 :: v_dual_lshlrev_b32 v2, 2, v0
	v_and_b32_e32 v3, 0x7fffffff, v1
	ds_store_b32 v2, v3
	s_waitcnt lgkmcnt(0)
	s_barrier
	buffer_gl0_inv
	v_cmpx_gt_u32_e32 64, v0
	s_cbranch_execz .LBB29_2
; %bb.1:
	ds_load_2addr_stride64_b32 v[3:4], v2 offset1:1
	s_waitcnt lgkmcnt(0)
	v_dual_max_f32 v4, v4, v4 :: v_dual_max_f32 v3, v3, v3
	s_delay_alu instid0(VALU_DEP_1)
	v_max_f32_e32 v3, v3, v4
	ds_store_b32 v2, v3
.LBB29_2:
	s_or_b32 exec_lo, exec_lo, s6
	s_delay_alu instid0(SALU_CYCLE_1)
	s_mov_b32 s6, exec_lo
	s_waitcnt lgkmcnt(0)
	s_barrier
	buffer_gl0_inv
	v_cmpx_gt_u32_e32 32, v0
	s_cbranch_execz .LBB29_4
; %bb.3:
	ds_load_2addr_b32 v[3:4], v2 offset1:32
	s_waitcnt lgkmcnt(0)
	v_dual_max_f32 v4, v4, v4 :: v_dual_max_f32 v3, v3, v3
	s_delay_alu instid0(VALU_DEP_1)
	v_max_f32_e32 v3, v3, v4
	ds_store_b32 v2, v3
.LBB29_4:
	s_or_b32 exec_lo, exec_lo, s6
	s_delay_alu instid0(SALU_CYCLE_1)
	s_mov_b32 s6, exec_lo
	s_waitcnt lgkmcnt(0)
	s_barrier
	buffer_gl0_inv
	v_cmpx_gt_u32_e32 16, v0
	s_cbranch_execz .LBB29_6
; %bb.5:
	ds_load_2addr_b32 v[3:4], v2 offset1:16
	s_waitcnt lgkmcnt(0)
	v_dual_max_f32 v4, v4, v4 :: v_dual_max_f32 v3, v3, v3
	s_delay_alu instid0(VALU_DEP_1)
	v_max_f32_e32 v3, v3, v4
	ds_store_b32 v2, v3
.LBB29_6:
	;; [unrolled: 16-line block ×5, first 2 shown]
	s_or_b32 exec_lo, exec_lo, s6
	v_cmp_eq_u32_e32 vcc_lo, 0, v0
	s_waitcnt lgkmcnt(0)
	s_barrier
	buffer_gl0_inv
	s_and_saveexec_b32 s6, vcc_lo
	s_cbranch_execz .LBB29_14
; %bb.13:
	v_mov_b32_e32 v3, 0
	ds_load_b32 v3, v3 offset:4
	ds_load_b32 v4, v2
	s_waitcnt lgkmcnt(0)
	v_dual_max_f32 v3, v3, v3 :: v_dual_max_f32 v4, v4, v4
	s_delay_alu instid0(VALU_DEP_1)
	v_max_f32_e32 v3, v4, v3
	ds_store_b32 v2, v3
.LBB29_14:
	s_or_b32 exec_lo, exec_lo, s6
	s_load_b64 s[6:7], s[0:1], 0x0
	s_waitcnt lgkmcnt(0)
	s_barrier
	buffer_gl0_inv
	s_and_saveexec_b32 s11, vcc_lo
	s_cbranch_execz .LBB29_18
; %bb.15:
	v_mov_b32_e32 v2, 0
	ds_load_b32 v3, v2
	s_clause 0x1
	s_load_b64 s[8:9], s[0:1], 0x18
	s_load_b64 s[0:1], s[0:1], 0x8
	s_waitcnt lgkmcnt(0)
	s_cmp_eq_u64 s[8:9], 0
	v_div_scale_f32 v4, null, 0x43600000, 0x43600000, v3
	s_delay_alu instid0(VALU_DEP_1) | instskip(SKIP_2) | instid1(VALU_DEP_1)
	v_rcp_f32_e32 v5, v4
	s_waitcnt_depctr 0xfff
	v_fma_f32 v6, -v4, v5, 1.0
	v_fmac_f32_e32 v5, v6, v5
	v_div_scale_f32 v6, vcc_lo, v3, 0x43600000, v3
	s_delay_alu instid0(VALU_DEP_1) | instskip(NEXT) | instid1(VALU_DEP_1)
	v_mul_f32_e32 v7, v6, v5
	v_fma_f32 v8, -v4, v7, v6
	s_delay_alu instid0(VALU_DEP_1) | instskip(NEXT) | instid1(VALU_DEP_1)
	v_fmac_f32_e32 v7, v8, v5
	v_fma_f32 v4, -v4, v7, v6
	s_delay_alu instid0(VALU_DEP_1) | instskip(NEXT) | instid1(VALU_DEP_1)
	v_div_fmas_f32 v4, v4, v5, v7
	v_div_fixup_f32 v3, v4, 0x43600000, v3
	s_cbranch_scc1 .LBB29_17
; %bb.16:
	s_load_b32 s8, s[8:9], 0x0
	s_delay_alu instid0(VALU_DEP_1) | instskip(SKIP_2) | instid1(VALU_DEP_1)
	v_max_f32_e32 v3, v3, v3
	s_waitcnt lgkmcnt(0)
	v_max_f32_e64 v4, s8, s8
	v_min_f32_e32 v3, v3, v4
.LBB29_17:
	s_mul_i32 s8, s5, s14
	s_delay_alu instid0(VALU_DEP_1) | instskip(SKIP_3) | instid1(VALU_DEP_1)
	v_max_f32_e32 v3, v3, v3
	s_ashr_i32 s9, s8, 31
	s_ashr_i32 s5, s4, 31
	s_lshl_b64 s[8:9], s[8:9], 2
	v_max_f32_e32 v3, 0x37124925, v3
	s_add_u32 s8, s0, s8
	s_addc_u32 s9, s1, s9
	s_lshl_b64 s[0:1], s[4:5], 2
	s_delay_alu instid0(SALU_CYCLE_1)
	s_add_u32 s0, s8, s0
	s_addc_u32 s1, s9, s1
	ds_store_b32 v2, v3
	global_store_b32 v2, v3, s[0:1]
.LBB29_18:
	s_or_b32 exec_lo, exec_lo, s11
	v_mov_b32_e32 v2, 0
	s_waitcnt lgkmcnt(0)
	s_waitcnt_vscnt null, 0x0
	s_barrier
	buffer_gl0_inv
	s_mov_b32 s0, 0x43600000
	ds_load_b32 v2, v2
	s_waitcnt lgkmcnt(0)
	v_div_scale_f32 v3, null, v2, v2, v1
	v_div_scale_f32 v6, vcc_lo, v1, v2, v1
	s_delay_alu instid0(VALU_DEP_2) | instskip(SKIP_2) | instid1(VALU_DEP_1)
	v_rcp_f32_e32 v4, v3
	s_waitcnt_depctr 0xfff
	v_fma_f32 v5, -v3, v4, 1.0
	v_fmac_f32_e32 v4, v5, v4
	s_delay_alu instid0(VALU_DEP_1) | instskip(NEXT) | instid1(VALU_DEP_1)
	v_mul_f32_e32 v5, v6, v4
	v_fma_f32 v7, -v3, v5, v6
	s_delay_alu instid0(VALU_DEP_1) | instskip(NEXT) | instid1(VALU_DEP_1)
	v_fmac_f32_e32 v5, v7, v4
	v_fma_f32 v3, -v3, v5, v6
	s_delay_alu instid0(VALU_DEP_1) | instskip(NEXT) | instid1(VALU_DEP_1)
	v_div_fmas_f32 v3, v3, v4, v5
	v_div_fixup_f32 v1, v3, v2, v1
	v_mov_b32_e32 v3, 0x80
	s_delay_alu instid0(VALU_DEP_2) | instskip(SKIP_1) | instid1(VALU_DEP_1)
	v_minmax_f32 v1, v1, s0, 0xc3600000
	s_mov_b32 s0, exec_lo
	v_and_b32_e32 v2, 0x7fffffff, v1
	s_delay_alu instid0(VALU_DEP_1)
	v_cmpx_gt_u32_e32 0x43800000, v2
	s_cbranch_execz .LBB29_24
; %bb.19:
	v_cmp_lt_u32_e32 vcc_lo, 0x3bffffff, v2
	s_mov_b32 s1, 0
                                        ; implicit-def: $vgpr2
	s_and_saveexec_b32 s4, vcc_lo
	s_delay_alu instid0(SALU_CYCLE_1)
	s_xor_b32 s4, exec_lo, s4
	s_cbranch_execnz .LBB29_25
; %bb.20:
	s_or_saveexec_b32 s4, s4
                                        ; implicit-def: $sgpr5
	s_delay_alu instid0(SALU_CYCLE_1)
	s_xor_b32 exec_lo, exec_lo, s4
	s_cbranch_execnz .LBB29_26
.LBB29_21:
	s_or_b32 exec_lo, exec_lo, s4
	v_mov_b32_e32 v3, s5
	s_and_saveexec_b32 s4, s1
.LBB29_22:
	v_lshrrev_b32_e32 v1, 24, v1
	s_delay_alu instid0(VALU_DEP_1)
	v_and_or_b32 v3, 0x80, v1, v2
.LBB29_23:
	s_or_b32 exec_lo, exec_lo, s4
.LBB29_24:
	s_delay_alu instid0(SALU_CYCLE_1)
	s_or_b32 exec_lo, exec_lo, s0
	s_ashr_i32 s0, s10, 31
	s_add_u32 s1, s6, s10
	s_addc_u32 s0, s7, s0
	s_add_u32 s1, s1, s2
	s_addc_u32 s0, s0, s3
	v_add_co_u32 v0, s1, s1, v0
	s_delay_alu instid0(VALU_DEP_1)
	v_add_co_ci_u32_e64 v1, null, s0, 0, s1
	global_store_b8 v[0:1], v3, off
	s_nop 0
	s_sendmsg sendmsg(MSG_DEALLOC_VGPRS)
	s_endpgm
.LBB29_25:
	v_bfe_u32 v2, v1, 20, 1
	s_mov_b32 s1, exec_lo
	s_delay_alu instid0(VALU_DEP_1) | instskip(NEXT) | instid1(VALU_DEP_1)
	v_add3_u32 v2, v1, v2, 0x487ffff
	v_lshrrev_b32_e32 v2, 20, v2
	s_or_saveexec_b32 s4, s4
                                        ; implicit-def: $sgpr5
	s_delay_alu instid0(SALU_CYCLE_1)
	s_xor_b32 exec_lo, exec_lo, s4
	s_cbranch_execz .LBB29_21
.LBB29_26:
	v_add_f32_e64 v2, 0x46000000, |v1|
	s_and_not1_b32 s1, s1, exec_lo
	s_mov_b32 s5, 0
	s_delay_alu instid0(VALU_DEP_1) | instskip(NEXT) | instid1(VALU_DEP_1)
	v_and_b32_e32 v2, 0xff, v2
	v_cmp_ne_u32_e32 vcc_lo, 0, v2
	s_and_b32 s8, vcc_lo, exec_lo
	s_delay_alu instid0(SALU_CYCLE_1)
	s_or_b32 s1, s1, s8
	s_or_b32 exec_lo, exec_lo, s4
	v_mov_b32_e32 v3, s5
	s_and_saveexec_b32 s4, s1
	s_cbranch_execnz .LBB29_22
	s_branch .LBB29_23
	.section	.rodata,"a",@progbits
	.p2align	6, 0x0
	.amdhsa_kernel _ZN4vllm35silu_and_mul_per_block_quant_kernelIN3c108BFloat16ENS1_15Float8_e4m3fnuzELb0ELi128EEEvPT0_PfPKT_PKfi
		.amdhsa_group_segment_fixed_size 512
		.amdhsa_private_segment_fixed_size 0
		.amdhsa_kernarg_size 296
		.amdhsa_user_sgpr_count 14
		.amdhsa_user_sgpr_dispatch_ptr 0
		.amdhsa_user_sgpr_queue_ptr 0
		.amdhsa_user_sgpr_kernarg_segment_ptr 1
		.amdhsa_user_sgpr_dispatch_id 0
		.amdhsa_user_sgpr_private_segment_size 0
		.amdhsa_wavefront_size32 1
		.amdhsa_uses_dynamic_stack 0
		.amdhsa_enable_private_segment 0
		.amdhsa_system_sgpr_workgroup_id_x 1
		.amdhsa_system_sgpr_workgroup_id_y 1
		.amdhsa_system_sgpr_workgroup_id_z 0
		.amdhsa_system_sgpr_workgroup_info 0
		.amdhsa_system_vgpr_workitem_id 0
		.amdhsa_next_free_vgpr 9
		.amdhsa_next_free_sgpr 16
		.amdhsa_reserve_vcc 1
		.amdhsa_float_round_mode_32 0
		.amdhsa_float_round_mode_16_64 0
		.amdhsa_float_denorm_mode_32 3
		.amdhsa_float_denorm_mode_16_64 3
		.amdhsa_dx10_clamp 1
		.amdhsa_ieee_mode 1
		.amdhsa_fp16_overflow 0
		.amdhsa_workgroup_processor_mode 1
		.amdhsa_memory_ordered 1
		.amdhsa_forward_progress 0
		.amdhsa_shared_vgpr_count 0
		.amdhsa_exception_fp_ieee_invalid_op 0
		.amdhsa_exception_fp_denorm_src 0
		.amdhsa_exception_fp_ieee_div_zero 0
		.amdhsa_exception_fp_ieee_overflow 0
		.amdhsa_exception_fp_ieee_underflow 0
		.amdhsa_exception_fp_ieee_inexact 0
		.amdhsa_exception_int_div_zero 0
	.end_amdhsa_kernel
	.section	.text._ZN4vllm35silu_and_mul_per_block_quant_kernelIN3c108BFloat16ENS1_15Float8_e4m3fnuzELb0ELi128EEEvPT0_PfPKT_PKfi,"axG",@progbits,_ZN4vllm35silu_and_mul_per_block_quant_kernelIN3c108BFloat16ENS1_15Float8_e4m3fnuzELb0ELi128EEEvPT0_PfPKT_PKfi,comdat
.Lfunc_end29:
	.size	_ZN4vllm35silu_and_mul_per_block_quant_kernelIN3c108BFloat16ENS1_15Float8_e4m3fnuzELb0ELi128EEEvPT0_PfPKT_PKfi, .Lfunc_end29-_ZN4vllm35silu_and_mul_per_block_quant_kernelIN3c108BFloat16ENS1_15Float8_e4m3fnuzELb0ELi128EEEvPT0_PfPKT_PKfi
                                        ; -- End function
	.section	.AMDGPU.csdata,"",@progbits
; Kernel info:
; codeLenInByte = 1628
; NumSgprs: 18
; NumVgprs: 9
; ScratchSize: 0
; MemoryBound: 0
; FloatMode: 240
; IeeeMode: 1
; LDSByteSize: 512 bytes/workgroup (compile time only)
; SGPRBlocks: 2
; VGPRBlocks: 1
; NumSGPRsForWavesPerEU: 18
; NumVGPRsForWavesPerEU: 9
; Occupancy: 16
; WaveLimiterHint : 0
; COMPUTE_PGM_RSRC2:SCRATCH_EN: 0
; COMPUTE_PGM_RSRC2:USER_SGPR: 14
; COMPUTE_PGM_RSRC2:TRAP_HANDLER: 0
; COMPUTE_PGM_RSRC2:TGID_X_EN: 1
; COMPUTE_PGM_RSRC2:TGID_Y_EN: 1
; COMPUTE_PGM_RSRC2:TGID_Z_EN: 0
; COMPUTE_PGM_RSRC2:TIDIG_COMP_CNT: 0
	.section	.text._ZN4vllm35silu_and_mul_per_block_quant_kernelIN3c108BFloat16ENS1_15Float8_e4m3fnuzELb1ELi64EEEvPT0_PfPKT_PKfi,"axG",@progbits,_ZN4vllm35silu_and_mul_per_block_quant_kernelIN3c108BFloat16ENS1_15Float8_e4m3fnuzELb1ELi64EEEvPT0_PfPKT_PKfi,comdat
	.protected	_ZN4vllm35silu_and_mul_per_block_quant_kernelIN3c108BFloat16ENS1_15Float8_e4m3fnuzELb1ELi64EEEvPT0_PfPKT_PKfi ; -- Begin function _ZN4vllm35silu_and_mul_per_block_quant_kernelIN3c108BFloat16ENS1_15Float8_e4m3fnuzELb1ELi64EEEvPT0_PfPKT_PKfi
	.globl	_ZN4vllm35silu_and_mul_per_block_quant_kernelIN3c108BFloat16ENS1_15Float8_e4m3fnuzELb1ELi64EEEvPT0_PfPKT_PKfi
	.p2align	8
	.type	_ZN4vllm35silu_and_mul_per_block_quant_kernelIN3c108BFloat16ENS1_15Float8_e4m3fnuzELb1ELi64EEEvPT0_PfPKT_PKfi,@function
_ZN4vllm35silu_and_mul_per_block_quant_kernelIN3c108BFloat16ENS1_15Float8_e4m3fnuzELb1ELi64EEEvPT0_PfPKT_PKfi: ; @_ZN4vllm35silu_and_mul_per_block_quant_kernelIN3c108BFloat16ENS1_15Float8_e4m3fnuzELb1ELi64EEEvPT0_PfPKT_PKfi
; %bb.0:
	s_clause 0x2
	s_load_b32 s4, s[0:1], 0x20
	s_load_b64 s[8:9], s[0:1], 0x10
	s_load_b32 s3, s[0:1], 0x28
	s_lshl_b32 s6, s15, 6
	v_lshlrev_b32_e32 v1, 1, v0
	s_mov_b32 s2, s15
	s_waitcnt lgkmcnt(0)
	s_mul_i32 s5, s14, s4
	s_delay_alu instid0(SALU_CYCLE_1) | instskip(SKIP_2) | instid1(SALU_CYCLE_1)
	s_lshl_b32 s10, s5, 1
	s_ashr_i32 s5, s4, 31
	s_ashr_i32 s11, s10, 31
	s_lshl_b64 s[10:11], s[10:11], 1
	s_delay_alu instid0(SALU_CYCLE_1) | instskip(SKIP_2) | instid1(SALU_CYCLE_1)
	s_add_u32 s10, s8, s10
	s_addc_u32 s11, s9, s11
	s_ashr_i32 s7, s6, 31
	s_lshl_b64 s[8:9], s[6:7], 1
	s_delay_alu instid0(SALU_CYCLE_1)
	s_add_u32 s8, s10, s8
	s_addc_u32 s9, s11, s9
	s_lshl_b64 s[10:11], s[4:5], 1
	global_load_u16 v2, v1, s[8:9]
	s_add_u32 s8, s8, s10
	s_addc_u32 s9, s9, s11
	s_mov_b32 s5, exec_lo
	s_waitcnt vmcnt(0)
	v_lshlrev_b32_e32 v2, 16, v2
	s_delay_alu instid0(VALU_DEP_1) | instskip(NEXT) | instid1(VALU_DEP_1)
	v_mul_f32_e32 v3, 0xbfb8aa3b, v2
	v_fma_f32 v4, 0xbfb8aa3b, v2, -v3
	v_rndne_f32_e32 v5, v3
	s_delay_alu instid0(VALU_DEP_1) | instskip(SKIP_4) | instid1(VALU_DEP_2)
	v_dual_sub_f32 v3, v3, v5 :: v_dual_fmamk_f32 v4, v2, 0xb2a5705f, v4
	global_load_u16 v1, v1, s[8:9]
	v_cmp_nlt_f32_e32 vcc_lo, 0x42ce8ed0, v2
	v_add_f32_e32 v3, v3, v4
	v_cvt_i32_f32_e32 v4, v5
	v_exp_f32_e32 v3, v3
	s_waitcnt_depctr 0xfff
	v_ldexp_f32 v3, v3, v4
	s_delay_alu instid0(VALU_DEP_1) | instskip(SKIP_1) | instid1(VALU_DEP_2)
	v_cndmask_b32_e32 v3, 0, v3, vcc_lo
	v_cmp_ngt_f32_e32 vcc_lo, 0xc2b17218, v2
	v_cndmask_b32_e32 v3, 0x7f800000, v3, vcc_lo
	s_delay_alu instid0(VALU_DEP_1) | instskip(NEXT) | instid1(VALU_DEP_1)
	v_add_f32_e32 v3, 1.0, v3
	v_div_scale_f32 v4, null, v3, v3, 1.0
	v_div_scale_f32 v7, vcc_lo, 1.0, v3, 1.0
	s_delay_alu instid0(VALU_DEP_2) | instskip(SKIP_2) | instid1(VALU_DEP_1)
	v_rcp_f32_e32 v5, v4
	s_waitcnt_depctr 0xfff
	v_fma_f32 v6, -v4, v5, 1.0
	v_fmac_f32_e32 v5, v6, v5
	s_delay_alu instid0(VALU_DEP_1) | instskip(NEXT) | instid1(VALU_DEP_1)
	v_mul_f32_e32 v6, v7, v5
	v_fma_f32 v8, -v4, v6, v7
	s_delay_alu instid0(VALU_DEP_1) | instskip(NEXT) | instid1(VALU_DEP_1)
	v_fmac_f32_e32 v6, v8, v5
	v_fma_f32 v4, -v4, v6, v7
	s_delay_alu instid0(VALU_DEP_1) | instskip(NEXT) | instid1(VALU_DEP_1)
	v_div_fmas_f32 v4, v4, v5, v6
	v_div_fixup_f32 v3, v4, v3, 1.0
	s_waitcnt vmcnt(0)
	s_delay_alu instid0(VALU_DEP_1) | instskip(NEXT) | instid1(VALU_DEP_1)
	v_dual_mul_f32 v2, v3, v2 :: v_dual_lshlrev_b32 v1, 16, v1
	v_dual_mul_f32 v1, v2, v1 :: v_dual_lshlrev_b32 v2, 2, v0
	s_delay_alu instid0(VALU_DEP_1)
	v_and_b32_e32 v3, 0x7fffffff, v1
	ds_store_b32 v2, v3
	s_waitcnt lgkmcnt(0)
	s_barrier
	buffer_gl0_inv
	v_cmpx_gt_u32_e32 32, v0
	s_cbranch_execz .LBB30_2
; %bb.1:
	ds_load_2addr_b32 v[3:4], v2 offset1:32
	s_waitcnt lgkmcnt(0)
	v_dual_max_f32 v4, v4, v4 :: v_dual_max_f32 v3, v3, v3
	s_delay_alu instid0(VALU_DEP_1)
	v_max_f32_e32 v3, v3, v4
	ds_store_b32 v2, v3
.LBB30_2:
	s_or_b32 exec_lo, exec_lo, s5
	s_delay_alu instid0(SALU_CYCLE_1)
	s_mov_b32 s5, exec_lo
	s_waitcnt lgkmcnt(0)
	s_barrier
	buffer_gl0_inv
	v_cmpx_gt_u32_e32 16, v0
	s_cbranch_execz .LBB30_4
; %bb.3:
	ds_load_2addr_b32 v[3:4], v2 offset1:16
	s_waitcnt lgkmcnt(0)
	v_dual_max_f32 v4, v4, v4 :: v_dual_max_f32 v3, v3, v3
	s_delay_alu instid0(VALU_DEP_1)
	v_max_f32_e32 v3, v3, v4
	ds_store_b32 v2, v3
.LBB30_4:
	s_or_b32 exec_lo, exec_lo, s5
	s_delay_alu instid0(SALU_CYCLE_1)
	s_mov_b32 s5, exec_lo
	;; [unrolled: 16-line block ×4, first 2 shown]
	s_waitcnt lgkmcnt(0)
	s_barrier
	buffer_gl0_inv
	v_cmpx_gt_u32_e32 2, v0
	s_cbranch_execz .LBB30_10
; %bb.9:
	ds_load_2addr_b32 v[3:4], v2 offset1:2
	s_waitcnt lgkmcnt(0)
	v_dual_max_f32 v4, v4, v4 :: v_dual_max_f32 v3, v3, v3
	s_delay_alu instid0(VALU_DEP_1)
	v_max_f32_e32 v3, v3, v4
	ds_store_b32 v2, v3
.LBB30_10:
	s_or_b32 exec_lo, exec_lo, s5
	v_cmp_eq_u32_e32 vcc_lo, 0, v0
	s_waitcnt lgkmcnt(0)
	s_barrier
	buffer_gl0_inv
	s_and_saveexec_b32 s5, vcc_lo
	s_cbranch_execz .LBB30_12
; %bb.11:
	v_mov_b32_e32 v3, 0
	ds_load_b32 v3, v3 offset:4
	ds_load_b32 v4, v2
	s_waitcnt lgkmcnt(0)
	v_dual_max_f32 v3, v3, v3 :: v_dual_max_f32 v4, v4, v4
	s_delay_alu instid0(VALU_DEP_1)
	v_max_f32_e32 v3, v4, v3
	ds_store_b32 v2, v3
.LBB30_12:
	s_or_b32 exec_lo, exec_lo, s5
	s_load_b64 s[8:9], s[0:1], 0x0
	s_ashr_i32 s15, s14, 31
	s_waitcnt lgkmcnt(0)
	s_barrier
	buffer_gl0_inv
	s_and_saveexec_b32 s5, vcc_lo
	s_cbranch_execz .LBB30_16
; %bb.13:
	v_mov_b32_e32 v2, 0
	ds_load_b32 v3, v2
	s_clause 0x1
	s_load_b64 s[10:11], s[0:1], 0x18
	s_load_b64 s[0:1], s[0:1], 0x8
	s_waitcnt lgkmcnt(0)
	s_cmp_eq_u64 s[10:11], 0
	v_div_scale_f32 v4, null, 0x43600000, 0x43600000, v3
	s_delay_alu instid0(VALU_DEP_1) | instskip(SKIP_2) | instid1(VALU_DEP_1)
	v_rcp_f32_e32 v5, v4
	s_waitcnt_depctr 0xfff
	v_fma_f32 v6, -v4, v5, 1.0
	v_fmac_f32_e32 v5, v6, v5
	v_div_scale_f32 v6, vcc_lo, v3, 0x43600000, v3
	s_delay_alu instid0(VALU_DEP_1) | instskip(NEXT) | instid1(VALU_DEP_1)
	v_mul_f32_e32 v7, v6, v5
	v_fma_f32 v8, -v4, v7, v6
	s_delay_alu instid0(VALU_DEP_1) | instskip(NEXT) | instid1(VALU_DEP_1)
	v_fmac_f32_e32 v7, v8, v5
	v_fma_f32 v4, -v4, v7, v6
	s_delay_alu instid0(VALU_DEP_1) | instskip(NEXT) | instid1(VALU_DEP_1)
	v_div_fmas_f32 v4, v4, v5, v7
	v_div_fixup_f32 v3, v4, 0x43600000, v3
	s_cbranch_scc1 .LBB30_15
; %bb.14:
	s_load_b32 s10, s[10:11], 0x0
	s_delay_alu instid0(VALU_DEP_1) | instskip(SKIP_2) | instid1(VALU_DEP_1)
	v_max_f32_e32 v3, v3, v3
	s_waitcnt lgkmcnt(0)
	v_max_f32_e64 v4, s10, s10
	v_min_f32_e32 v3, v3, v4
.LBB30_15:
	s_mul_i32 s2, s3, s2
	s_delay_alu instid0(VALU_DEP_1) | instskip(SKIP_1) | instid1(SALU_CYCLE_1)
	v_max_f32_e32 v3, v3, v3
	s_ashr_i32 s3, s2, 31
	s_lshl_b64 s[2:3], s[2:3], 2
	s_delay_alu instid0(VALU_DEP_1) | instskip(SKIP_3) | instid1(SALU_CYCLE_1)
	v_max_f32_e32 v3, 0x37124925, v3
	s_add_u32 s2, s0, s2
	s_addc_u32 s3, s1, s3
	s_lshl_b64 s[0:1], s[14:15], 2
	s_add_u32 s0, s2, s0
	s_addc_u32 s1, s3, s1
	ds_store_b32 v2, v3
	global_store_b32 v2, v3, s[0:1]
.LBB30_16:
	s_or_b32 exec_lo, exec_lo, s5
	v_mov_b32_e32 v2, 0
	s_waitcnt lgkmcnt(0)
	s_waitcnt_vscnt null, 0x0
	s_barrier
	buffer_gl0_inv
	s_mov_b32 s0, 0x43600000
	ds_load_b32 v2, v2
	s_waitcnt lgkmcnt(0)
	v_div_scale_f32 v3, null, v2, v2, v1
	v_div_scale_f32 v6, vcc_lo, v1, v2, v1
	s_delay_alu instid0(VALU_DEP_2) | instskip(SKIP_2) | instid1(VALU_DEP_1)
	v_rcp_f32_e32 v4, v3
	s_waitcnt_depctr 0xfff
	v_fma_f32 v5, -v3, v4, 1.0
	v_fmac_f32_e32 v4, v5, v4
	s_delay_alu instid0(VALU_DEP_1) | instskip(NEXT) | instid1(VALU_DEP_1)
	v_mul_f32_e32 v5, v6, v4
	v_fma_f32 v7, -v3, v5, v6
	s_delay_alu instid0(VALU_DEP_1) | instskip(NEXT) | instid1(VALU_DEP_1)
	v_fmac_f32_e32 v5, v7, v4
	v_fma_f32 v3, -v3, v5, v6
	s_delay_alu instid0(VALU_DEP_1) | instskip(NEXT) | instid1(VALU_DEP_1)
	v_div_fmas_f32 v3, v3, v4, v5
	v_div_fixup_f32 v1, v3, v2, v1
	v_mov_b32_e32 v3, 0x80
	s_delay_alu instid0(VALU_DEP_2) | instskip(SKIP_1) | instid1(VALU_DEP_1)
	v_minmax_f32 v1, v1, s0, 0xc3600000
	s_mov_b32 s0, exec_lo
	v_and_b32_e32 v2, 0x7fffffff, v1
	s_delay_alu instid0(VALU_DEP_1)
	v_cmpx_gt_u32_e32 0x43800000, v2
	s_cbranch_execz .LBB30_22
; %bb.17:
	v_cmp_lt_u32_e32 vcc_lo, 0x3bffffff, v2
	s_mov_b32 s1, 0
                                        ; implicit-def: $vgpr2
	s_and_saveexec_b32 s2, vcc_lo
	s_delay_alu instid0(SALU_CYCLE_1)
	s_xor_b32 s2, exec_lo, s2
	s_cbranch_execnz .LBB30_23
; %bb.18:
	s_or_saveexec_b32 s2, s2
                                        ; implicit-def: $sgpr3
	s_delay_alu instid0(SALU_CYCLE_1)
	s_xor_b32 exec_lo, exec_lo, s2
	s_cbranch_execnz .LBB30_24
.LBB30_19:
	s_or_b32 exec_lo, exec_lo, s2
	v_mov_b32_e32 v3, s3
	s_and_saveexec_b32 s2, s1
.LBB30_20:
	v_lshrrev_b32_e32 v1, 24, v1
	s_delay_alu instid0(VALU_DEP_1)
	v_and_or_b32 v3, 0x80, v1, v2
.LBB30_21:
	s_or_b32 exec_lo, exec_lo, s2
.LBB30_22:
	s_delay_alu instid0(SALU_CYCLE_1) | instskip(SKIP_1) | instid1(SALU_CYCLE_1)
	s_or_b32 exec_lo, exec_lo, s0
	s_mul_i32 s0, s14, s4
	s_ashr_i32 s1, s0, 31
	s_add_u32 s0, s8, s0
	s_addc_u32 s1, s9, s1
	s_add_u32 s0, s0, s6
	s_addc_u32 s1, s1, s7
	v_add_co_u32 v0, s0, s0, v0
	s_delay_alu instid0(VALU_DEP_1)
	v_add_co_ci_u32_e64 v1, null, s1, 0, s0
	global_store_b8 v[0:1], v3, off
	s_nop 0
	s_sendmsg sendmsg(MSG_DEALLOC_VGPRS)
	s_endpgm
.LBB30_23:
	v_bfe_u32 v2, v1, 20, 1
	s_mov_b32 s1, exec_lo
	s_delay_alu instid0(VALU_DEP_1) | instskip(NEXT) | instid1(VALU_DEP_1)
	v_add3_u32 v2, v1, v2, 0x487ffff
	v_lshrrev_b32_e32 v2, 20, v2
	s_or_saveexec_b32 s2, s2
                                        ; implicit-def: $sgpr3
	s_delay_alu instid0(SALU_CYCLE_1)
	s_xor_b32 exec_lo, exec_lo, s2
	s_cbranch_execz .LBB30_19
.LBB30_24:
	v_add_f32_e64 v2, 0x46000000, |v1|
	s_and_not1_b32 s1, s1, exec_lo
	s_mov_b32 s3, 0
	s_delay_alu instid0(VALU_DEP_1) | instskip(NEXT) | instid1(VALU_DEP_1)
	v_and_b32_e32 v2, 0xff, v2
	v_cmp_ne_u32_e32 vcc_lo, 0, v2
	s_and_b32 s5, vcc_lo, exec_lo
	s_delay_alu instid0(SALU_CYCLE_1)
	s_or_b32 s1, s1, s5
	s_or_b32 exec_lo, exec_lo, s2
	v_mov_b32_e32 v3, s3
	s_and_saveexec_b32 s2, s1
	s_cbranch_execnz .LBB30_20
	s_branch .LBB30_21
	.section	.rodata,"a",@progbits
	.p2align	6, 0x0
	.amdhsa_kernel _ZN4vllm35silu_and_mul_per_block_quant_kernelIN3c108BFloat16ENS1_15Float8_e4m3fnuzELb1ELi64EEEvPT0_PfPKT_PKfi
		.amdhsa_group_segment_fixed_size 256
		.amdhsa_private_segment_fixed_size 0
		.amdhsa_kernarg_size 296
		.amdhsa_user_sgpr_count 14
		.amdhsa_user_sgpr_dispatch_ptr 0
		.amdhsa_user_sgpr_queue_ptr 0
		.amdhsa_user_sgpr_kernarg_segment_ptr 1
		.amdhsa_user_sgpr_dispatch_id 0
		.amdhsa_user_sgpr_private_segment_size 0
		.amdhsa_wavefront_size32 1
		.amdhsa_uses_dynamic_stack 0
		.amdhsa_enable_private_segment 0
		.amdhsa_system_sgpr_workgroup_id_x 1
		.amdhsa_system_sgpr_workgroup_id_y 1
		.amdhsa_system_sgpr_workgroup_id_z 0
		.amdhsa_system_sgpr_workgroup_info 0
		.amdhsa_system_vgpr_workitem_id 0
		.amdhsa_next_free_vgpr 9
		.amdhsa_next_free_sgpr 16
		.amdhsa_reserve_vcc 1
		.amdhsa_float_round_mode_32 0
		.amdhsa_float_round_mode_16_64 0
		.amdhsa_float_denorm_mode_32 3
		.amdhsa_float_denorm_mode_16_64 3
		.amdhsa_dx10_clamp 1
		.amdhsa_ieee_mode 1
		.amdhsa_fp16_overflow 0
		.amdhsa_workgroup_processor_mode 1
		.amdhsa_memory_ordered 1
		.amdhsa_forward_progress 0
		.amdhsa_shared_vgpr_count 0
		.amdhsa_exception_fp_ieee_invalid_op 0
		.amdhsa_exception_fp_denorm_src 0
		.amdhsa_exception_fp_ieee_div_zero 0
		.amdhsa_exception_fp_ieee_overflow 0
		.amdhsa_exception_fp_ieee_underflow 0
		.amdhsa_exception_fp_ieee_inexact 0
		.amdhsa_exception_int_div_zero 0
	.end_amdhsa_kernel
	.section	.text._ZN4vllm35silu_and_mul_per_block_quant_kernelIN3c108BFloat16ENS1_15Float8_e4m3fnuzELb1ELi64EEEvPT0_PfPKT_PKfi,"axG",@progbits,_ZN4vllm35silu_and_mul_per_block_quant_kernelIN3c108BFloat16ENS1_15Float8_e4m3fnuzELb1ELi64EEEvPT0_PfPKT_PKfi,comdat
.Lfunc_end30:
	.size	_ZN4vllm35silu_and_mul_per_block_quant_kernelIN3c108BFloat16ENS1_15Float8_e4m3fnuzELb1ELi64EEEvPT0_PfPKT_PKfi, .Lfunc_end30-_ZN4vllm35silu_and_mul_per_block_quant_kernelIN3c108BFloat16ENS1_15Float8_e4m3fnuzELb1ELi64EEEvPT0_PfPKT_PKfi
                                        ; -- End function
	.section	.AMDGPU.csdata,"",@progbits
; Kernel info:
; codeLenInByte = 1560
; NumSgprs: 18
; NumVgprs: 9
; ScratchSize: 0
; MemoryBound: 0
; FloatMode: 240
; IeeeMode: 1
; LDSByteSize: 256 bytes/workgroup (compile time only)
; SGPRBlocks: 2
; VGPRBlocks: 1
; NumSGPRsForWavesPerEU: 18
; NumVGPRsForWavesPerEU: 9
; Occupancy: 16
; WaveLimiterHint : 0
; COMPUTE_PGM_RSRC2:SCRATCH_EN: 0
; COMPUTE_PGM_RSRC2:USER_SGPR: 14
; COMPUTE_PGM_RSRC2:TRAP_HANDLER: 0
; COMPUTE_PGM_RSRC2:TGID_X_EN: 1
; COMPUTE_PGM_RSRC2:TGID_Y_EN: 1
; COMPUTE_PGM_RSRC2:TGID_Z_EN: 0
; COMPUTE_PGM_RSRC2:TIDIG_COMP_CNT: 0
	.section	.text._ZN4vllm35silu_and_mul_per_block_quant_kernelIN3c108BFloat16ENS1_15Float8_e4m3fnuzELb0ELi64EEEvPT0_PfPKT_PKfi,"axG",@progbits,_ZN4vllm35silu_and_mul_per_block_quant_kernelIN3c108BFloat16ENS1_15Float8_e4m3fnuzELb0ELi64EEEvPT0_PfPKT_PKfi,comdat
	.protected	_ZN4vllm35silu_and_mul_per_block_quant_kernelIN3c108BFloat16ENS1_15Float8_e4m3fnuzELb0ELi64EEEvPT0_PfPKT_PKfi ; -- Begin function _ZN4vllm35silu_and_mul_per_block_quant_kernelIN3c108BFloat16ENS1_15Float8_e4m3fnuzELb0ELi64EEEvPT0_PfPKT_PKfi
	.globl	_ZN4vllm35silu_and_mul_per_block_quant_kernelIN3c108BFloat16ENS1_15Float8_e4m3fnuzELb0ELi64EEEvPT0_PfPKT_PKfi
	.p2align	8
	.type	_ZN4vllm35silu_and_mul_per_block_quant_kernelIN3c108BFloat16ENS1_15Float8_e4m3fnuzELb0ELi64EEEvPT0_PfPKT_PKfi,@function
_ZN4vllm35silu_and_mul_per_block_quant_kernelIN3c108BFloat16ENS1_15Float8_e4m3fnuzELb0ELi64EEEvPT0_PfPKT_PKfi: ; @_ZN4vllm35silu_and_mul_per_block_quant_kernelIN3c108BFloat16ENS1_15Float8_e4m3fnuzELb0ELi64EEEvPT0_PfPKT_PKfi
; %bb.0:
	s_clause 0x2
	s_load_b32 s6, s[0:1], 0x20
	s_load_b64 s[8:9], s[0:1], 0x10
	s_load_b32 s5, s[0:1], 0x2c
	s_lshl_b32 s2, s15, 6
	v_lshlrev_b32_e32 v1, 1, v0
	s_mov_b32 s4, s15
	s_waitcnt lgkmcnt(0)
	s_mul_i32 s10, s14, s6
	s_ashr_i32 s7, s6, 31
	s_lshl_b32 s12, s10, 1
	s_delay_alu instid0(SALU_CYCLE_1) | instskip(NEXT) | instid1(SALU_CYCLE_1)
	s_ashr_i32 s13, s12, 31
	s_lshl_b64 s[12:13], s[12:13], 1
	s_delay_alu instid0(SALU_CYCLE_1) | instskip(SKIP_2) | instid1(SALU_CYCLE_1)
	s_add_u32 s11, s8, s12
	s_addc_u32 s12, s9, s13
	s_ashr_i32 s3, s2, 31
	s_lshl_b64 s[8:9], s[2:3], 1
	s_delay_alu instid0(SALU_CYCLE_1)
	s_add_u32 s8, s11, s8
	s_addc_u32 s9, s12, s9
	s_lshl_b64 s[6:7], s[6:7], 1
	global_load_u16 v2, v1, s[8:9]
	s_add_u32 s6, s8, s6
	s_addc_u32 s7, s9, s7
	s_waitcnt vmcnt(0)
	v_lshlrev_b32_e32 v2, 16, v2
	s_delay_alu instid0(VALU_DEP_1) | instskip(NEXT) | instid1(VALU_DEP_1)
	v_mul_f32_e32 v3, 0xbfb8aa3b, v2
	v_fma_f32 v4, 0xbfb8aa3b, v2, -v3
	v_rndne_f32_e32 v5, v3
	s_delay_alu instid0(VALU_DEP_1)
	v_dual_sub_f32 v3, v3, v5 :: v_dual_fmamk_f32 v4, v2, 0xb2a5705f, v4
	global_load_u16 v1, v1, s[6:7]
	v_cmp_nlt_f32_e32 vcc_lo, 0x42ce8ed0, v2
	s_mov_b32 s6, exec_lo
	v_add_f32_e32 v3, v3, v4
	v_cvt_i32_f32_e32 v4, v5
	s_delay_alu instid0(VALU_DEP_2) | instskip(SKIP_2) | instid1(VALU_DEP_1)
	v_exp_f32_e32 v3, v3
	s_waitcnt_depctr 0xfff
	v_ldexp_f32 v3, v3, v4
	v_cndmask_b32_e32 v3, 0, v3, vcc_lo
	v_cmp_ngt_f32_e32 vcc_lo, 0xc2b17218, v2
	s_delay_alu instid0(VALU_DEP_2) | instskip(NEXT) | instid1(VALU_DEP_1)
	v_cndmask_b32_e32 v3, 0x7f800000, v3, vcc_lo
	v_add_f32_e32 v3, 1.0, v3
	s_delay_alu instid0(VALU_DEP_1) | instskip(SKIP_1) | instid1(VALU_DEP_2)
	v_div_scale_f32 v4, null, v3, v3, 1.0
	v_div_scale_f32 v7, vcc_lo, 1.0, v3, 1.0
	v_rcp_f32_e32 v5, v4
	s_waitcnt_depctr 0xfff
	v_fma_f32 v6, -v4, v5, 1.0
	s_delay_alu instid0(VALU_DEP_1) | instskip(NEXT) | instid1(VALU_DEP_1)
	v_fmac_f32_e32 v5, v6, v5
	v_mul_f32_e32 v6, v7, v5
	s_delay_alu instid0(VALU_DEP_1) | instskip(NEXT) | instid1(VALU_DEP_1)
	v_fma_f32 v8, -v4, v6, v7
	v_fmac_f32_e32 v6, v8, v5
	s_delay_alu instid0(VALU_DEP_1) | instskip(NEXT) | instid1(VALU_DEP_1)
	v_fma_f32 v4, -v4, v6, v7
	v_div_fmas_f32 v4, v4, v5, v6
	s_delay_alu instid0(VALU_DEP_1) | instskip(SKIP_1) | instid1(VALU_DEP_1)
	v_div_fixup_f32 v3, v4, v3, 1.0
	s_waitcnt vmcnt(0)
	v_dual_mul_f32 v2, v3, v2 :: v_dual_lshlrev_b32 v1, 16, v1
	s_delay_alu instid0(VALU_DEP_1) | instskip(NEXT) | instid1(VALU_DEP_1)
	v_dual_mul_f32 v1, v2, v1 :: v_dual_lshlrev_b32 v2, 2, v0
	v_and_b32_e32 v3, 0x7fffffff, v1
	ds_store_b32 v2, v3
	s_waitcnt lgkmcnt(0)
	s_barrier
	buffer_gl0_inv
	v_cmpx_gt_u32_e32 32, v0
	s_cbranch_execz .LBB31_2
; %bb.1:
	ds_load_2addr_b32 v[3:4], v2 offset1:32
	s_waitcnt lgkmcnt(0)
	v_dual_max_f32 v4, v4, v4 :: v_dual_max_f32 v3, v3, v3
	s_delay_alu instid0(VALU_DEP_1)
	v_max_f32_e32 v3, v3, v4
	ds_store_b32 v2, v3
.LBB31_2:
	s_or_b32 exec_lo, exec_lo, s6
	s_delay_alu instid0(SALU_CYCLE_1)
	s_mov_b32 s6, exec_lo
	s_waitcnt lgkmcnt(0)
	s_barrier
	buffer_gl0_inv
	v_cmpx_gt_u32_e32 16, v0
	s_cbranch_execz .LBB31_4
; %bb.3:
	ds_load_2addr_b32 v[3:4], v2 offset1:16
	s_waitcnt lgkmcnt(0)
	v_dual_max_f32 v4, v4, v4 :: v_dual_max_f32 v3, v3, v3
	s_delay_alu instid0(VALU_DEP_1)
	v_max_f32_e32 v3, v3, v4
	ds_store_b32 v2, v3
.LBB31_4:
	s_or_b32 exec_lo, exec_lo, s6
	s_delay_alu instid0(SALU_CYCLE_1)
	s_mov_b32 s6, exec_lo
	s_waitcnt lgkmcnt(0)
	s_barrier
	buffer_gl0_inv
	v_cmpx_gt_u32_e32 8, v0
	s_cbranch_execz .LBB31_6
; %bb.5:
	ds_load_2addr_b32 v[3:4], v2 offset1:8
	s_waitcnt lgkmcnt(0)
	v_dual_max_f32 v4, v4, v4 :: v_dual_max_f32 v3, v3, v3
	s_delay_alu instid0(VALU_DEP_1)
	v_max_f32_e32 v3, v3, v4
	ds_store_b32 v2, v3
.LBB31_6:
	s_or_b32 exec_lo, exec_lo, s6
	s_delay_alu instid0(SALU_CYCLE_1)
	s_mov_b32 s6, exec_lo
	s_waitcnt lgkmcnt(0)
	s_barrier
	buffer_gl0_inv
	v_cmpx_gt_u32_e32 4, v0
	s_cbranch_execz .LBB31_8
; %bb.7:
	ds_load_2addr_b32 v[3:4], v2 offset1:4
	s_waitcnt lgkmcnt(0)
	v_dual_max_f32 v4, v4, v4 :: v_dual_max_f32 v3, v3, v3
	s_delay_alu instid0(VALU_DEP_1)
	v_max_f32_e32 v3, v3, v4
	ds_store_b32 v2, v3
.LBB31_8:
	s_or_b32 exec_lo, exec_lo, s6
	s_delay_alu instid0(SALU_CYCLE_1)
	s_mov_b32 s6, exec_lo
	s_waitcnt lgkmcnt(0)
	s_barrier
	buffer_gl0_inv
	v_cmpx_gt_u32_e32 2, v0
	s_cbranch_execz .LBB31_10
; %bb.9:
	ds_load_2addr_b32 v[3:4], v2 offset1:2
	s_waitcnt lgkmcnt(0)
	v_dual_max_f32 v4, v4, v4 :: v_dual_max_f32 v3, v3, v3
	s_delay_alu instid0(VALU_DEP_1)
	v_max_f32_e32 v3, v3, v4
	ds_store_b32 v2, v3
.LBB31_10:
	s_or_b32 exec_lo, exec_lo, s6
	v_cmp_eq_u32_e32 vcc_lo, 0, v0
	s_waitcnt lgkmcnt(0)
	s_barrier
	buffer_gl0_inv
	s_and_saveexec_b32 s6, vcc_lo
	s_cbranch_execz .LBB31_12
; %bb.11:
	v_mov_b32_e32 v3, 0
	ds_load_b32 v3, v3 offset:4
	ds_load_b32 v4, v2
	s_waitcnt lgkmcnt(0)
	v_dual_max_f32 v3, v3, v3 :: v_dual_max_f32 v4, v4, v4
	s_delay_alu instid0(VALU_DEP_1)
	v_max_f32_e32 v3, v4, v3
	ds_store_b32 v2, v3
.LBB31_12:
	s_or_b32 exec_lo, exec_lo, s6
	s_load_b64 s[6:7], s[0:1], 0x0
	s_waitcnt lgkmcnt(0)
	s_barrier
	buffer_gl0_inv
	s_and_saveexec_b32 s11, vcc_lo
	s_cbranch_execz .LBB31_16
; %bb.13:
	v_mov_b32_e32 v2, 0
	ds_load_b32 v3, v2
	s_clause 0x1
	s_load_b64 s[8:9], s[0:1], 0x18
	s_load_b64 s[0:1], s[0:1], 0x8
	s_waitcnt lgkmcnt(0)
	s_cmp_eq_u64 s[8:9], 0
	v_div_scale_f32 v4, null, 0x43600000, 0x43600000, v3
	s_delay_alu instid0(VALU_DEP_1) | instskip(SKIP_2) | instid1(VALU_DEP_1)
	v_rcp_f32_e32 v5, v4
	s_waitcnt_depctr 0xfff
	v_fma_f32 v6, -v4, v5, 1.0
	v_fmac_f32_e32 v5, v6, v5
	v_div_scale_f32 v6, vcc_lo, v3, 0x43600000, v3
	s_delay_alu instid0(VALU_DEP_1) | instskip(NEXT) | instid1(VALU_DEP_1)
	v_mul_f32_e32 v7, v6, v5
	v_fma_f32 v8, -v4, v7, v6
	s_delay_alu instid0(VALU_DEP_1) | instskip(NEXT) | instid1(VALU_DEP_1)
	v_fmac_f32_e32 v7, v8, v5
	v_fma_f32 v4, -v4, v7, v6
	s_delay_alu instid0(VALU_DEP_1) | instskip(NEXT) | instid1(VALU_DEP_1)
	v_div_fmas_f32 v4, v4, v5, v7
	v_div_fixup_f32 v3, v4, 0x43600000, v3
	s_cbranch_scc1 .LBB31_15
; %bb.14:
	s_load_b32 s8, s[8:9], 0x0
	s_delay_alu instid0(VALU_DEP_1) | instskip(SKIP_2) | instid1(VALU_DEP_1)
	v_max_f32_e32 v3, v3, v3
	s_waitcnt lgkmcnt(0)
	v_max_f32_e64 v4, s8, s8
	v_min_f32_e32 v3, v3, v4
.LBB31_15:
	s_mul_i32 s8, s5, s14
	s_delay_alu instid0(VALU_DEP_1) | instskip(SKIP_3) | instid1(VALU_DEP_1)
	v_max_f32_e32 v3, v3, v3
	s_ashr_i32 s9, s8, 31
	s_ashr_i32 s5, s4, 31
	s_lshl_b64 s[8:9], s[8:9], 2
	v_max_f32_e32 v3, 0x37124925, v3
	s_add_u32 s8, s0, s8
	s_addc_u32 s9, s1, s9
	s_lshl_b64 s[0:1], s[4:5], 2
	s_delay_alu instid0(SALU_CYCLE_1)
	s_add_u32 s0, s8, s0
	s_addc_u32 s1, s9, s1
	ds_store_b32 v2, v3
	global_store_b32 v2, v3, s[0:1]
.LBB31_16:
	s_or_b32 exec_lo, exec_lo, s11
	v_mov_b32_e32 v2, 0
	s_waitcnt lgkmcnt(0)
	s_waitcnt_vscnt null, 0x0
	s_barrier
	buffer_gl0_inv
	s_mov_b32 s0, 0x43600000
	ds_load_b32 v2, v2
	s_waitcnt lgkmcnt(0)
	v_div_scale_f32 v3, null, v2, v2, v1
	v_div_scale_f32 v6, vcc_lo, v1, v2, v1
	s_delay_alu instid0(VALU_DEP_2) | instskip(SKIP_2) | instid1(VALU_DEP_1)
	v_rcp_f32_e32 v4, v3
	s_waitcnt_depctr 0xfff
	v_fma_f32 v5, -v3, v4, 1.0
	v_fmac_f32_e32 v4, v5, v4
	s_delay_alu instid0(VALU_DEP_1) | instskip(NEXT) | instid1(VALU_DEP_1)
	v_mul_f32_e32 v5, v6, v4
	v_fma_f32 v7, -v3, v5, v6
	s_delay_alu instid0(VALU_DEP_1) | instskip(NEXT) | instid1(VALU_DEP_1)
	v_fmac_f32_e32 v5, v7, v4
	v_fma_f32 v3, -v3, v5, v6
	s_delay_alu instid0(VALU_DEP_1) | instskip(NEXT) | instid1(VALU_DEP_1)
	v_div_fmas_f32 v3, v3, v4, v5
	v_div_fixup_f32 v1, v3, v2, v1
	v_mov_b32_e32 v3, 0x80
	s_delay_alu instid0(VALU_DEP_2) | instskip(SKIP_1) | instid1(VALU_DEP_1)
	v_minmax_f32 v1, v1, s0, 0xc3600000
	s_mov_b32 s0, exec_lo
	v_and_b32_e32 v2, 0x7fffffff, v1
	s_delay_alu instid0(VALU_DEP_1)
	v_cmpx_gt_u32_e32 0x43800000, v2
	s_cbranch_execz .LBB31_22
; %bb.17:
	v_cmp_lt_u32_e32 vcc_lo, 0x3bffffff, v2
	s_mov_b32 s1, 0
                                        ; implicit-def: $vgpr2
	s_and_saveexec_b32 s4, vcc_lo
	s_delay_alu instid0(SALU_CYCLE_1)
	s_xor_b32 s4, exec_lo, s4
	s_cbranch_execnz .LBB31_23
; %bb.18:
	s_or_saveexec_b32 s4, s4
                                        ; implicit-def: $sgpr5
	s_delay_alu instid0(SALU_CYCLE_1)
	s_xor_b32 exec_lo, exec_lo, s4
	s_cbranch_execnz .LBB31_24
.LBB31_19:
	s_or_b32 exec_lo, exec_lo, s4
	v_mov_b32_e32 v3, s5
	s_and_saveexec_b32 s4, s1
.LBB31_20:
	v_lshrrev_b32_e32 v1, 24, v1
	s_delay_alu instid0(VALU_DEP_1)
	v_and_or_b32 v3, 0x80, v1, v2
.LBB31_21:
	s_or_b32 exec_lo, exec_lo, s4
.LBB31_22:
	s_delay_alu instid0(SALU_CYCLE_1)
	s_or_b32 exec_lo, exec_lo, s0
	s_ashr_i32 s0, s10, 31
	s_add_u32 s1, s6, s10
	s_addc_u32 s0, s7, s0
	s_add_u32 s1, s1, s2
	s_addc_u32 s0, s0, s3
	v_add_co_u32 v0, s1, s1, v0
	s_delay_alu instid0(VALU_DEP_1)
	v_add_co_ci_u32_e64 v1, null, s0, 0, s1
	global_store_b8 v[0:1], v3, off
	s_nop 0
	s_sendmsg sendmsg(MSG_DEALLOC_VGPRS)
	s_endpgm
.LBB31_23:
	v_bfe_u32 v2, v1, 20, 1
	s_mov_b32 s1, exec_lo
	s_delay_alu instid0(VALU_DEP_1) | instskip(NEXT) | instid1(VALU_DEP_1)
	v_add3_u32 v2, v1, v2, 0x487ffff
	v_lshrrev_b32_e32 v2, 20, v2
	s_or_saveexec_b32 s4, s4
                                        ; implicit-def: $sgpr5
	s_delay_alu instid0(SALU_CYCLE_1)
	s_xor_b32 exec_lo, exec_lo, s4
	s_cbranch_execz .LBB31_19
.LBB31_24:
	v_add_f32_e64 v2, 0x46000000, |v1|
	s_and_not1_b32 s1, s1, exec_lo
	s_mov_b32 s5, 0
	s_delay_alu instid0(VALU_DEP_1) | instskip(NEXT) | instid1(VALU_DEP_1)
	v_and_b32_e32 v2, 0xff, v2
	v_cmp_ne_u32_e32 vcc_lo, 0, v2
	s_and_b32 s8, vcc_lo, exec_lo
	s_delay_alu instid0(SALU_CYCLE_1)
	s_or_b32 s1, s1, s8
	s_or_b32 exec_lo, exec_lo, s4
	v_mov_b32_e32 v3, s5
	s_and_saveexec_b32 s4, s1
	s_cbranch_execnz .LBB31_20
	s_branch .LBB31_21
	.section	.rodata,"a",@progbits
	.p2align	6, 0x0
	.amdhsa_kernel _ZN4vllm35silu_and_mul_per_block_quant_kernelIN3c108BFloat16ENS1_15Float8_e4m3fnuzELb0ELi64EEEvPT0_PfPKT_PKfi
		.amdhsa_group_segment_fixed_size 256
		.amdhsa_private_segment_fixed_size 0
		.amdhsa_kernarg_size 296
		.amdhsa_user_sgpr_count 14
		.amdhsa_user_sgpr_dispatch_ptr 0
		.amdhsa_user_sgpr_queue_ptr 0
		.amdhsa_user_sgpr_kernarg_segment_ptr 1
		.amdhsa_user_sgpr_dispatch_id 0
		.amdhsa_user_sgpr_private_segment_size 0
		.amdhsa_wavefront_size32 1
		.amdhsa_uses_dynamic_stack 0
		.amdhsa_enable_private_segment 0
		.amdhsa_system_sgpr_workgroup_id_x 1
		.amdhsa_system_sgpr_workgroup_id_y 1
		.amdhsa_system_sgpr_workgroup_id_z 0
		.amdhsa_system_sgpr_workgroup_info 0
		.amdhsa_system_vgpr_workitem_id 0
		.amdhsa_next_free_vgpr 9
		.amdhsa_next_free_sgpr 16
		.amdhsa_reserve_vcc 1
		.amdhsa_float_round_mode_32 0
		.amdhsa_float_round_mode_16_64 0
		.amdhsa_float_denorm_mode_32 3
		.amdhsa_float_denorm_mode_16_64 3
		.amdhsa_dx10_clamp 1
		.amdhsa_ieee_mode 1
		.amdhsa_fp16_overflow 0
		.amdhsa_workgroup_processor_mode 1
		.amdhsa_memory_ordered 1
		.amdhsa_forward_progress 0
		.amdhsa_shared_vgpr_count 0
		.amdhsa_exception_fp_ieee_invalid_op 0
		.amdhsa_exception_fp_denorm_src 0
		.amdhsa_exception_fp_ieee_div_zero 0
		.amdhsa_exception_fp_ieee_overflow 0
		.amdhsa_exception_fp_ieee_underflow 0
		.amdhsa_exception_fp_ieee_inexact 0
		.amdhsa_exception_int_div_zero 0
	.end_amdhsa_kernel
	.section	.text._ZN4vllm35silu_and_mul_per_block_quant_kernelIN3c108BFloat16ENS1_15Float8_e4m3fnuzELb0ELi64EEEvPT0_PfPKT_PKfi,"axG",@progbits,_ZN4vllm35silu_and_mul_per_block_quant_kernelIN3c108BFloat16ENS1_15Float8_e4m3fnuzELb0ELi64EEEvPT0_PfPKT_PKfi,comdat
.Lfunc_end31:
	.size	_ZN4vllm35silu_and_mul_per_block_quant_kernelIN3c108BFloat16ENS1_15Float8_e4m3fnuzELb0ELi64EEEvPT0_PfPKT_PKfi, .Lfunc_end31-_ZN4vllm35silu_and_mul_per_block_quant_kernelIN3c108BFloat16ENS1_15Float8_e4m3fnuzELb0ELi64EEEvPT0_PfPKT_PKfi
                                        ; -- End function
	.section	.AMDGPU.csdata,"",@progbits
; Kernel info:
; codeLenInByte = 1556
; NumSgprs: 18
; NumVgprs: 9
; ScratchSize: 0
; MemoryBound: 0
; FloatMode: 240
; IeeeMode: 1
; LDSByteSize: 256 bytes/workgroup (compile time only)
; SGPRBlocks: 2
; VGPRBlocks: 1
; NumSGPRsForWavesPerEU: 18
; NumVGPRsForWavesPerEU: 9
; Occupancy: 16
; WaveLimiterHint : 0
; COMPUTE_PGM_RSRC2:SCRATCH_EN: 0
; COMPUTE_PGM_RSRC2:USER_SGPR: 14
; COMPUTE_PGM_RSRC2:TRAP_HANDLER: 0
; COMPUTE_PGM_RSRC2:TGID_X_EN: 1
; COMPUTE_PGM_RSRC2:TGID_Y_EN: 1
; COMPUTE_PGM_RSRC2:TGID_Z_EN: 0
; COMPUTE_PGM_RSRC2:TIDIG_COMP_CNT: 0
	.section	.text._ZN4vllm35silu_and_mul_per_block_quant_kernelIN3c108BFloat16EaLb1ELi128EEEvPT0_PfPKT_PKfi,"axG",@progbits,_ZN4vllm35silu_and_mul_per_block_quant_kernelIN3c108BFloat16EaLb1ELi128EEEvPT0_PfPKT_PKfi,comdat
	.protected	_ZN4vllm35silu_and_mul_per_block_quant_kernelIN3c108BFloat16EaLb1ELi128EEEvPT0_PfPKT_PKfi ; -- Begin function _ZN4vllm35silu_and_mul_per_block_quant_kernelIN3c108BFloat16EaLb1ELi128EEEvPT0_PfPKT_PKfi
	.globl	_ZN4vllm35silu_and_mul_per_block_quant_kernelIN3c108BFloat16EaLb1ELi128EEEvPT0_PfPKT_PKfi
	.p2align	8
	.type	_ZN4vllm35silu_and_mul_per_block_quant_kernelIN3c108BFloat16EaLb1ELi128EEEvPT0_PfPKT_PKfi,@function
_ZN4vllm35silu_and_mul_per_block_quant_kernelIN3c108BFloat16EaLb1ELi128EEEvPT0_PfPKT_PKfi: ; @_ZN4vllm35silu_and_mul_per_block_quant_kernelIN3c108BFloat16EaLb1ELi128EEEvPT0_PfPKT_PKfi
; %bb.0:
	s_clause 0x2
	s_load_b32 s4, s[0:1], 0x20
	s_load_b64 s[8:9], s[0:1], 0x10
	s_load_b32 s3, s[0:1], 0x28
	s_lshl_b32 s6, s15, 7
	v_lshlrev_b32_e32 v1, 1, v0
	s_mov_b32 s2, s15
	s_waitcnt lgkmcnt(0)
	s_mul_i32 s5, s14, s4
	s_delay_alu instid0(SALU_CYCLE_1) | instskip(SKIP_2) | instid1(SALU_CYCLE_1)
	s_lshl_b32 s10, s5, 1
	s_ashr_i32 s5, s4, 31
	s_ashr_i32 s11, s10, 31
	s_lshl_b64 s[10:11], s[10:11], 1
	s_delay_alu instid0(SALU_CYCLE_1) | instskip(SKIP_2) | instid1(SALU_CYCLE_1)
	s_add_u32 s10, s8, s10
	s_addc_u32 s11, s9, s11
	s_ashr_i32 s7, s6, 31
	s_lshl_b64 s[8:9], s[6:7], 1
	s_delay_alu instid0(SALU_CYCLE_1)
	s_add_u32 s8, s10, s8
	s_addc_u32 s9, s11, s9
	s_lshl_b64 s[10:11], s[4:5], 1
	global_load_u16 v2, v1, s[8:9]
	s_add_u32 s8, s8, s10
	s_addc_u32 s9, s9, s11
	s_mov_b32 s5, exec_lo
	s_waitcnt vmcnt(0)
	v_lshlrev_b32_e32 v2, 16, v2
	s_delay_alu instid0(VALU_DEP_1) | instskip(NEXT) | instid1(VALU_DEP_1)
	v_mul_f32_e32 v3, 0xbfb8aa3b, v2
	v_fma_f32 v4, 0xbfb8aa3b, v2, -v3
	v_rndne_f32_e32 v5, v3
	s_delay_alu instid0(VALU_DEP_1) | instskip(SKIP_4) | instid1(VALU_DEP_2)
	v_dual_sub_f32 v3, v3, v5 :: v_dual_fmamk_f32 v4, v2, 0xb2a5705f, v4
	global_load_u16 v1, v1, s[8:9]
	v_cmp_nlt_f32_e32 vcc_lo, 0x42ce8ed0, v2
	v_add_f32_e32 v3, v3, v4
	v_cvt_i32_f32_e32 v4, v5
	v_exp_f32_e32 v3, v3
	s_waitcnt_depctr 0xfff
	v_ldexp_f32 v3, v3, v4
	s_delay_alu instid0(VALU_DEP_1) | instskip(SKIP_1) | instid1(VALU_DEP_2)
	v_cndmask_b32_e32 v3, 0, v3, vcc_lo
	v_cmp_ngt_f32_e32 vcc_lo, 0xc2b17218, v2
	v_cndmask_b32_e32 v3, 0x7f800000, v3, vcc_lo
	s_delay_alu instid0(VALU_DEP_1) | instskip(NEXT) | instid1(VALU_DEP_1)
	v_add_f32_e32 v3, 1.0, v3
	v_div_scale_f32 v4, null, v3, v3, 1.0
	v_div_scale_f32 v7, vcc_lo, 1.0, v3, 1.0
	s_delay_alu instid0(VALU_DEP_2) | instskip(SKIP_2) | instid1(VALU_DEP_1)
	v_rcp_f32_e32 v5, v4
	s_waitcnt_depctr 0xfff
	v_fma_f32 v6, -v4, v5, 1.0
	v_fmac_f32_e32 v5, v6, v5
	s_delay_alu instid0(VALU_DEP_1) | instskip(NEXT) | instid1(VALU_DEP_1)
	v_mul_f32_e32 v6, v7, v5
	v_fma_f32 v8, -v4, v6, v7
	s_delay_alu instid0(VALU_DEP_1) | instskip(NEXT) | instid1(VALU_DEP_1)
	v_fmac_f32_e32 v6, v8, v5
	v_fma_f32 v4, -v4, v6, v7
	s_delay_alu instid0(VALU_DEP_1) | instskip(NEXT) | instid1(VALU_DEP_1)
	v_div_fmas_f32 v4, v4, v5, v6
	v_div_fixup_f32 v3, v4, v3, 1.0
	s_waitcnt vmcnt(0)
	s_delay_alu instid0(VALU_DEP_1) | instskip(NEXT) | instid1(VALU_DEP_1)
	v_dual_mul_f32 v2, v3, v2 :: v_dual_lshlrev_b32 v1, 16, v1
	v_dual_mul_f32 v1, v2, v1 :: v_dual_lshlrev_b32 v2, 2, v0
	s_delay_alu instid0(VALU_DEP_1)
	v_and_b32_e32 v3, 0x7fffffff, v1
	ds_store_b32 v2, v3
	s_waitcnt lgkmcnt(0)
	s_barrier
	buffer_gl0_inv
	v_cmpx_gt_u32_e32 64, v0
	s_cbranch_execz .LBB32_2
; %bb.1:
	ds_load_2addr_stride64_b32 v[3:4], v2 offset1:1
	s_waitcnt lgkmcnt(0)
	v_dual_max_f32 v4, v4, v4 :: v_dual_max_f32 v3, v3, v3
	s_delay_alu instid0(VALU_DEP_1)
	v_max_f32_e32 v3, v3, v4
	ds_store_b32 v2, v3
.LBB32_2:
	s_or_b32 exec_lo, exec_lo, s5
	s_delay_alu instid0(SALU_CYCLE_1)
	s_mov_b32 s5, exec_lo
	s_waitcnt lgkmcnt(0)
	s_barrier
	buffer_gl0_inv
	v_cmpx_gt_u32_e32 32, v0
	s_cbranch_execz .LBB32_4
; %bb.3:
	ds_load_2addr_b32 v[3:4], v2 offset1:32
	s_waitcnt lgkmcnt(0)
	v_dual_max_f32 v4, v4, v4 :: v_dual_max_f32 v3, v3, v3
	s_delay_alu instid0(VALU_DEP_1)
	v_max_f32_e32 v3, v3, v4
	ds_store_b32 v2, v3
.LBB32_4:
	s_or_b32 exec_lo, exec_lo, s5
	s_delay_alu instid0(SALU_CYCLE_1)
	s_mov_b32 s5, exec_lo
	s_waitcnt lgkmcnt(0)
	s_barrier
	buffer_gl0_inv
	v_cmpx_gt_u32_e32 16, v0
	s_cbranch_execz .LBB32_6
; %bb.5:
	ds_load_2addr_b32 v[3:4], v2 offset1:16
	s_waitcnt lgkmcnt(0)
	v_dual_max_f32 v4, v4, v4 :: v_dual_max_f32 v3, v3, v3
	s_delay_alu instid0(VALU_DEP_1)
	v_max_f32_e32 v3, v3, v4
	ds_store_b32 v2, v3
.LBB32_6:
	;; [unrolled: 16-line block ×5, first 2 shown]
	s_or_b32 exec_lo, exec_lo, s5
	v_cmp_eq_u32_e32 vcc_lo, 0, v0
	s_waitcnt lgkmcnt(0)
	s_barrier
	buffer_gl0_inv
	s_and_saveexec_b32 s5, vcc_lo
	s_cbranch_execz .LBB32_14
; %bb.13:
	v_mov_b32_e32 v3, 0
	ds_load_b32 v3, v3 offset:4
	ds_load_b32 v4, v2
	s_waitcnt lgkmcnt(0)
	v_dual_max_f32 v3, v3, v3 :: v_dual_max_f32 v4, v4, v4
	s_delay_alu instid0(VALU_DEP_1)
	v_max_f32_e32 v3, v4, v3
	ds_store_b32 v2, v3
.LBB32_14:
	s_or_b32 exec_lo, exec_lo, s5
	s_load_b64 s[8:9], s[0:1], 0x0
	s_ashr_i32 s15, s14, 31
	s_waitcnt lgkmcnt(0)
	s_barrier
	buffer_gl0_inv
	s_and_saveexec_b32 s5, vcc_lo
	s_cbranch_execz .LBB32_18
; %bb.15:
	v_mov_b32_e32 v2, 0
	ds_load_b32 v3, v2
	s_clause 0x1
	s_load_b64 s[10:11], s[0:1], 0x18
	s_load_b64 s[0:1], s[0:1], 0x8
	s_waitcnt lgkmcnt(0)
	s_cmp_eq_u64 s[10:11], 0
	v_div_scale_f32 v4, null, 0x42fe0000, 0x42fe0000, v3
	s_delay_alu instid0(VALU_DEP_1) | instskip(SKIP_2) | instid1(VALU_DEP_1)
	v_rcp_f32_e32 v5, v4
	s_waitcnt_depctr 0xfff
	v_fma_f32 v6, -v4, v5, 1.0
	v_fmac_f32_e32 v5, v6, v5
	v_div_scale_f32 v6, vcc_lo, v3, 0x42fe0000, v3
	s_delay_alu instid0(VALU_DEP_1) | instskip(NEXT) | instid1(VALU_DEP_1)
	v_mul_f32_e32 v7, v6, v5
	v_fma_f32 v8, -v4, v7, v6
	s_delay_alu instid0(VALU_DEP_1) | instskip(NEXT) | instid1(VALU_DEP_1)
	v_fmac_f32_e32 v7, v8, v5
	v_fma_f32 v4, -v4, v7, v6
	s_delay_alu instid0(VALU_DEP_1) | instskip(NEXT) | instid1(VALU_DEP_1)
	v_div_fmas_f32 v4, v4, v5, v7
	v_div_fixup_f32 v3, v4, 0x42fe0000, v3
	s_cbranch_scc1 .LBB32_17
; %bb.16:
	s_load_b32 s10, s[10:11], 0x0
	s_delay_alu instid0(VALU_DEP_1) | instskip(SKIP_2) | instid1(VALU_DEP_1)
	v_max_f32_e32 v3, v3, v3
	s_waitcnt lgkmcnt(0)
	v_max_f32_e64 v4, s10, s10
	v_min_f32_e32 v3, v3, v4
.LBB32_17:
	s_mul_i32 s2, s3, s2
	s_delay_alu instid0(VALU_DEP_1) | instskip(SKIP_1) | instid1(SALU_CYCLE_1)
	v_max_f32_e32 v3, v3, v3
	s_ashr_i32 s3, s2, 31
	s_lshl_b64 s[2:3], s[2:3], 2
	s_delay_alu instid0(VALU_DEP_1) | instskip(SKIP_3) | instid1(SALU_CYCLE_1)
	v_max_f32_e32 v3, 0x34000000, v3
	s_add_u32 s2, s0, s2
	s_addc_u32 s3, s1, s3
	s_lshl_b64 s[0:1], s[14:15], 2
	s_add_u32 s0, s2, s0
	s_addc_u32 s1, s3, s1
	ds_store_b32 v2, v3
	global_store_b32 v2, v3, s[0:1]
.LBB32_18:
	s_or_b32 exec_lo, exec_lo, s5
	v_mov_b32_e32 v2, 0
	s_waitcnt lgkmcnt(0)
	s_waitcnt_vscnt null, 0x0
	s_barrier
	buffer_gl0_inv
	s_mul_i32 s0, s14, s4
	ds_load_b32 v2, v2
	s_ashr_i32 s1, s0, 31
	s_add_u32 s0, s8, s0
	s_addc_u32 s1, s9, s1
	s_add_u32 s0, s0, s6
	s_addc_u32 s1, s1, s7
	v_add_co_u32 v0, s0, s0, v0
	s_waitcnt lgkmcnt(0)
	v_div_scale_f32 v3, null, v2, v2, v1
	v_div_scale_f32 v6, vcc_lo, v1, v2, v1
	s_delay_alu instid0(VALU_DEP_2) | instskip(SKIP_2) | instid1(VALU_DEP_1)
	v_rcp_f32_e32 v4, v3
	s_waitcnt_depctr 0xfff
	v_fma_f32 v5, -v3, v4, 1.0
	v_fmac_f32_e32 v4, v5, v4
	s_delay_alu instid0(VALU_DEP_1) | instskip(NEXT) | instid1(VALU_DEP_1)
	v_mul_f32_e32 v5, v6, v4
	v_fma_f32 v7, -v3, v5, v6
	s_delay_alu instid0(VALU_DEP_1) | instskip(NEXT) | instid1(VALU_DEP_1)
	v_fmac_f32_e32 v5, v7, v4
	v_fma_f32 v3, -v3, v5, v6
	s_delay_alu instid0(VALU_DEP_1) | instskip(NEXT) | instid1(VALU_DEP_1)
	v_div_fmas_f32 v3, v3, v4, v5
	v_div_fixup_f32 v1, v3, v2, v1
	s_delay_alu instid0(VALU_DEP_1) | instskip(NEXT) | instid1(VALU_DEP_1)
	v_rndne_f32_e32 v1, v1
	v_cmp_nlt_f32_e32 vcc_lo, 0x42fe0000, v1
	v_cndmask_b32_e32 v2, 0x42fe0000, v1, vcc_lo
	v_cmp_ngt_f32_e32 vcc_lo, 0xc3000000, v1
	s_delay_alu instid0(VALU_DEP_2) | instskip(NEXT) | instid1(VALU_DEP_1)
	v_cndmask_b32_e32 v1, 0xc3000000, v2, vcc_lo
	v_cvt_i32_f32_e32 v2, v1
	v_add_co_ci_u32_e64 v1, null, s1, 0, s0
	global_store_b8 v[0:1], v2, off
	s_nop 0
	s_sendmsg sendmsg(MSG_DEALLOC_VGPRS)
	s_endpgm
	.section	.rodata,"a",@progbits
	.p2align	6, 0x0
	.amdhsa_kernel _ZN4vllm35silu_and_mul_per_block_quant_kernelIN3c108BFloat16EaLb1ELi128EEEvPT0_PfPKT_PKfi
		.amdhsa_group_segment_fixed_size 512
		.amdhsa_private_segment_fixed_size 0
		.amdhsa_kernarg_size 296
		.amdhsa_user_sgpr_count 14
		.amdhsa_user_sgpr_dispatch_ptr 0
		.amdhsa_user_sgpr_queue_ptr 0
		.amdhsa_user_sgpr_kernarg_segment_ptr 1
		.amdhsa_user_sgpr_dispatch_id 0
		.amdhsa_user_sgpr_private_segment_size 0
		.amdhsa_wavefront_size32 1
		.amdhsa_uses_dynamic_stack 0
		.amdhsa_enable_private_segment 0
		.amdhsa_system_sgpr_workgroup_id_x 1
		.amdhsa_system_sgpr_workgroup_id_y 1
		.amdhsa_system_sgpr_workgroup_id_z 0
		.amdhsa_system_sgpr_workgroup_info 0
		.amdhsa_system_vgpr_workitem_id 0
		.amdhsa_next_free_vgpr 9
		.amdhsa_next_free_sgpr 16
		.amdhsa_reserve_vcc 1
		.amdhsa_float_round_mode_32 0
		.amdhsa_float_round_mode_16_64 0
		.amdhsa_float_denorm_mode_32 3
		.amdhsa_float_denorm_mode_16_64 3
		.amdhsa_dx10_clamp 1
		.amdhsa_ieee_mode 1
		.amdhsa_fp16_overflow 0
		.amdhsa_workgroup_processor_mode 1
		.amdhsa_memory_ordered 1
		.amdhsa_forward_progress 0
		.amdhsa_shared_vgpr_count 0
		.amdhsa_exception_fp_ieee_invalid_op 0
		.amdhsa_exception_fp_denorm_src 0
		.amdhsa_exception_fp_ieee_div_zero 0
		.amdhsa_exception_fp_ieee_overflow 0
		.amdhsa_exception_fp_ieee_underflow 0
		.amdhsa_exception_fp_ieee_inexact 0
		.amdhsa_exception_int_div_zero 0
	.end_amdhsa_kernel
	.section	.text._ZN4vllm35silu_and_mul_per_block_quant_kernelIN3c108BFloat16EaLb1ELi128EEEvPT0_PfPKT_PKfi,"axG",@progbits,_ZN4vllm35silu_and_mul_per_block_quant_kernelIN3c108BFloat16EaLb1ELi128EEEvPT0_PfPKT_PKfi,comdat
.Lfunc_end32:
	.size	_ZN4vllm35silu_and_mul_per_block_quant_kernelIN3c108BFloat16EaLb1ELi128EEEvPT0_PfPKT_PKfi, .Lfunc_end32-_ZN4vllm35silu_and_mul_per_block_quant_kernelIN3c108BFloat16EaLb1ELi128EEEvPT0_PfPKT_PKfi
                                        ; -- End function
	.section	.AMDGPU.csdata,"",@progbits
; Kernel info:
; codeLenInByte = 1412
; NumSgprs: 18
; NumVgprs: 9
; ScratchSize: 0
; MemoryBound: 0
; FloatMode: 240
; IeeeMode: 1
; LDSByteSize: 512 bytes/workgroup (compile time only)
; SGPRBlocks: 2
; VGPRBlocks: 1
; NumSGPRsForWavesPerEU: 18
; NumVGPRsForWavesPerEU: 9
; Occupancy: 16
; WaveLimiterHint : 0
; COMPUTE_PGM_RSRC2:SCRATCH_EN: 0
; COMPUTE_PGM_RSRC2:USER_SGPR: 14
; COMPUTE_PGM_RSRC2:TRAP_HANDLER: 0
; COMPUTE_PGM_RSRC2:TGID_X_EN: 1
; COMPUTE_PGM_RSRC2:TGID_Y_EN: 1
; COMPUTE_PGM_RSRC2:TGID_Z_EN: 0
; COMPUTE_PGM_RSRC2:TIDIG_COMP_CNT: 0
	.section	.text._ZN4vllm35silu_and_mul_per_block_quant_kernelIN3c108BFloat16EaLb0ELi128EEEvPT0_PfPKT_PKfi,"axG",@progbits,_ZN4vllm35silu_and_mul_per_block_quant_kernelIN3c108BFloat16EaLb0ELi128EEEvPT0_PfPKT_PKfi,comdat
	.protected	_ZN4vllm35silu_and_mul_per_block_quant_kernelIN3c108BFloat16EaLb0ELi128EEEvPT0_PfPKT_PKfi ; -- Begin function _ZN4vllm35silu_and_mul_per_block_quant_kernelIN3c108BFloat16EaLb0ELi128EEEvPT0_PfPKT_PKfi
	.globl	_ZN4vllm35silu_and_mul_per_block_quant_kernelIN3c108BFloat16EaLb0ELi128EEEvPT0_PfPKT_PKfi
	.p2align	8
	.type	_ZN4vllm35silu_and_mul_per_block_quant_kernelIN3c108BFloat16EaLb0ELi128EEEvPT0_PfPKT_PKfi,@function
_ZN4vllm35silu_and_mul_per_block_quant_kernelIN3c108BFloat16EaLb0ELi128EEEvPT0_PfPKT_PKfi: ; @_ZN4vllm35silu_and_mul_per_block_quant_kernelIN3c108BFloat16EaLb0ELi128EEEvPT0_PfPKT_PKfi
; %bb.0:
	s_clause 0x2
	s_load_b32 s6, s[0:1], 0x20
	s_load_b64 s[8:9], s[0:1], 0x10
	s_load_b32 s5, s[0:1], 0x2c
	s_lshl_b32 s2, s15, 7
	v_lshlrev_b32_e32 v1, 1, v0
	s_mov_b32 s4, s15
	s_waitcnt lgkmcnt(0)
	s_mul_i32 s10, s14, s6
	s_ashr_i32 s7, s6, 31
	s_lshl_b32 s12, s10, 1
	s_delay_alu instid0(SALU_CYCLE_1) | instskip(NEXT) | instid1(SALU_CYCLE_1)
	s_ashr_i32 s13, s12, 31
	s_lshl_b64 s[12:13], s[12:13], 1
	s_delay_alu instid0(SALU_CYCLE_1) | instskip(SKIP_2) | instid1(SALU_CYCLE_1)
	s_add_u32 s11, s8, s12
	s_addc_u32 s12, s9, s13
	s_ashr_i32 s3, s2, 31
	s_lshl_b64 s[8:9], s[2:3], 1
	s_delay_alu instid0(SALU_CYCLE_1)
	s_add_u32 s8, s11, s8
	s_addc_u32 s9, s12, s9
	s_lshl_b64 s[6:7], s[6:7], 1
	global_load_u16 v2, v1, s[8:9]
	s_add_u32 s6, s8, s6
	s_addc_u32 s7, s9, s7
	s_waitcnt vmcnt(0)
	v_lshlrev_b32_e32 v2, 16, v2
	s_delay_alu instid0(VALU_DEP_1) | instskip(NEXT) | instid1(VALU_DEP_1)
	v_mul_f32_e32 v3, 0xbfb8aa3b, v2
	v_fma_f32 v4, 0xbfb8aa3b, v2, -v3
	v_rndne_f32_e32 v5, v3
	s_delay_alu instid0(VALU_DEP_1)
	v_dual_sub_f32 v3, v3, v5 :: v_dual_fmamk_f32 v4, v2, 0xb2a5705f, v4
	global_load_u16 v1, v1, s[6:7]
	v_cmp_nlt_f32_e32 vcc_lo, 0x42ce8ed0, v2
	s_mov_b32 s6, exec_lo
	v_add_f32_e32 v3, v3, v4
	v_cvt_i32_f32_e32 v4, v5
	s_delay_alu instid0(VALU_DEP_2) | instskip(SKIP_2) | instid1(VALU_DEP_1)
	v_exp_f32_e32 v3, v3
	s_waitcnt_depctr 0xfff
	v_ldexp_f32 v3, v3, v4
	v_cndmask_b32_e32 v3, 0, v3, vcc_lo
	v_cmp_ngt_f32_e32 vcc_lo, 0xc2b17218, v2
	s_delay_alu instid0(VALU_DEP_2) | instskip(NEXT) | instid1(VALU_DEP_1)
	v_cndmask_b32_e32 v3, 0x7f800000, v3, vcc_lo
	v_add_f32_e32 v3, 1.0, v3
	s_delay_alu instid0(VALU_DEP_1) | instskip(SKIP_1) | instid1(VALU_DEP_2)
	v_div_scale_f32 v4, null, v3, v3, 1.0
	v_div_scale_f32 v7, vcc_lo, 1.0, v3, 1.0
	v_rcp_f32_e32 v5, v4
	s_waitcnt_depctr 0xfff
	v_fma_f32 v6, -v4, v5, 1.0
	s_delay_alu instid0(VALU_DEP_1) | instskip(NEXT) | instid1(VALU_DEP_1)
	v_fmac_f32_e32 v5, v6, v5
	v_mul_f32_e32 v6, v7, v5
	s_delay_alu instid0(VALU_DEP_1) | instskip(NEXT) | instid1(VALU_DEP_1)
	v_fma_f32 v8, -v4, v6, v7
	v_fmac_f32_e32 v6, v8, v5
	s_delay_alu instid0(VALU_DEP_1) | instskip(NEXT) | instid1(VALU_DEP_1)
	v_fma_f32 v4, -v4, v6, v7
	v_div_fmas_f32 v4, v4, v5, v6
	s_delay_alu instid0(VALU_DEP_1) | instskip(SKIP_1) | instid1(VALU_DEP_1)
	v_div_fixup_f32 v3, v4, v3, 1.0
	s_waitcnt vmcnt(0)
	v_dual_mul_f32 v2, v3, v2 :: v_dual_lshlrev_b32 v1, 16, v1
	s_delay_alu instid0(VALU_DEP_1) | instskip(NEXT) | instid1(VALU_DEP_1)
	v_dual_mul_f32 v1, v2, v1 :: v_dual_lshlrev_b32 v2, 2, v0
	v_and_b32_e32 v3, 0x7fffffff, v1
	ds_store_b32 v2, v3
	s_waitcnt lgkmcnt(0)
	s_barrier
	buffer_gl0_inv
	v_cmpx_gt_u32_e32 64, v0
	s_cbranch_execz .LBB33_2
; %bb.1:
	ds_load_2addr_stride64_b32 v[3:4], v2 offset1:1
	s_waitcnt lgkmcnt(0)
	v_dual_max_f32 v4, v4, v4 :: v_dual_max_f32 v3, v3, v3
	s_delay_alu instid0(VALU_DEP_1)
	v_max_f32_e32 v3, v3, v4
	ds_store_b32 v2, v3
.LBB33_2:
	s_or_b32 exec_lo, exec_lo, s6
	s_delay_alu instid0(SALU_CYCLE_1)
	s_mov_b32 s6, exec_lo
	s_waitcnt lgkmcnt(0)
	s_barrier
	buffer_gl0_inv
	v_cmpx_gt_u32_e32 32, v0
	s_cbranch_execz .LBB33_4
; %bb.3:
	ds_load_2addr_b32 v[3:4], v2 offset1:32
	s_waitcnt lgkmcnt(0)
	v_dual_max_f32 v4, v4, v4 :: v_dual_max_f32 v3, v3, v3
	s_delay_alu instid0(VALU_DEP_1)
	v_max_f32_e32 v3, v3, v4
	ds_store_b32 v2, v3
.LBB33_4:
	s_or_b32 exec_lo, exec_lo, s6
	s_delay_alu instid0(SALU_CYCLE_1)
	s_mov_b32 s6, exec_lo
	s_waitcnt lgkmcnt(0)
	s_barrier
	buffer_gl0_inv
	v_cmpx_gt_u32_e32 16, v0
	s_cbranch_execz .LBB33_6
; %bb.5:
	ds_load_2addr_b32 v[3:4], v2 offset1:16
	s_waitcnt lgkmcnt(0)
	v_dual_max_f32 v4, v4, v4 :: v_dual_max_f32 v3, v3, v3
	s_delay_alu instid0(VALU_DEP_1)
	v_max_f32_e32 v3, v3, v4
	ds_store_b32 v2, v3
.LBB33_6:
	;; [unrolled: 16-line block ×5, first 2 shown]
	s_or_b32 exec_lo, exec_lo, s6
	v_cmp_eq_u32_e32 vcc_lo, 0, v0
	s_waitcnt lgkmcnt(0)
	s_barrier
	buffer_gl0_inv
	s_and_saveexec_b32 s6, vcc_lo
	s_cbranch_execz .LBB33_14
; %bb.13:
	v_mov_b32_e32 v3, 0
	ds_load_b32 v3, v3 offset:4
	ds_load_b32 v4, v2
	s_waitcnt lgkmcnt(0)
	v_dual_max_f32 v3, v3, v3 :: v_dual_max_f32 v4, v4, v4
	s_delay_alu instid0(VALU_DEP_1)
	v_max_f32_e32 v3, v4, v3
	ds_store_b32 v2, v3
.LBB33_14:
	s_or_b32 exec_lo, exec_lo, s6
	s_load_b64 s[6:7], s[0:1], 0x0
	s_waitcnt lgkmcnt(0)
	s_barrier
	buffer_gl0_inv
	s_and_saveexec_b32 s11, vcc_lo
	s_cbranch_execz .LBB33_18
; %bb.15:
	v_mov_b32_e32 v2, 0
	ds_load_b32 v3, v2
	s_clause 0x1
	s_load_b64 s[8:9], s[0:1], 0x18
	s_load_b64 s[0:1], s[0:1], 0x8
	s_waitcnt lgkmcnt(0)
	s_cmp_eq_u64 s[8:9], 0
	v_div_scale_f32 v4, null, 0x42fe0000, 0x42fe0000, v3
	s_delay_alu instid0(VALU_DEP_1) | instskip(SKIP_2) | instid1(VALU_DEP_1)
	v_rcp_f32_e32 v5, v4
	s_waitcnt_depctr 0xfff
	v_fma_f32 v6, -v4, v5, 1.0
	v_fmac_f32_e32 v5, v6, v5
	v_div_scale_f32 v6, vcc_lo, v3, 0x42fe0000, v3
	s_delay_alu instid0(VALU_DEP_1) | instskip(NEXT) | instid1(VALU_DEP_1)
	v_mul_f32_e32 v7, v6, v5
	v_fma_f32 v8, -v4, v7, v6
	s_delay_alu instid0(VALU_DEP_1) | instskip(NEXT) | instid1(VALU_DEP_1)
	v_fmac_f32_e32 v7, v8, v5
	v_fma_f32 v4, -v4, v7, v6
	s_delay_alu instid0(VALU_DEP_1) | instskip(NEXT) | instid1(VALU_DEP_1)
	v_div_fmas_f32 v4, v4, v5, v7
	v_div_fixup_f32 v3, v4, 0x42fe0000, v3
	s_cbranch_scc1 .LBB33_17
; %bb.16:
	s_load_b32 s8, s[8:9], 0x0
	s_delay_alu instid0(VALU_DEP_1) | instskip(SKIP_2) | instid1(VALU_DEP_1)
	v_max_f32_e32 v3, v3, v3
	s_waitcnt lgkmcnt(0)
	v_max_f32_e64 v4, s8, s8
	v_min_f32_e32 v3, v3, v4
.LBB33_17:
	s_mul_i32 s8, s5, s14
	s_delay_alu instid0(VALU_DEP_1) | instskip(SKIP_3) | instid1(VALU_DEP_1)
	v_max_f32_e32 v3, v3, v3
	s_ashr_i32 s9, s8, 31
	s_ashr_i32 s5, s4, 31
	s_lshl_b64 s[8:9], s[8:9], 2
	v_max_f32_e32 v3, 0x34000000, v3
	s_add_u32 s8, s0, s8
	s_addc_u32 s9, s1, s9
	s_lshl_b64 s[0:1], s[4:5], 2
	s_delay_alu instid0(SALU_CYCLE_1)
	s_add_u32 s0, s8, s0
	s_addc_u32 s1, s9, s1
	ds_store_b32 v2, v3
	global_store_b32 v2, v3, s[0:1]
.LBB33_18:
	s_or_b32 exec_lo, exec_lo, s11
	v_mov_b32_e32 v2, 0
	s_waitcnt lgkmcnt(0)
	s_waitcnt_vscnt null, 0x0
	s_barrier
	buffer_gl0_inv
	s_ashr_i32 s0, s10, 31
	ds_load_b32 v2, v2
	s_add_u32 s1, s6, s10
	s_addc_u32 s0, s7, s0
	s_add_u32 s1, s1, s2
	s_addc_u32 s0, s0, s3
	v_add_co_u32 v0, s1, s1, v0
	s_waitcnt lgkmcnt(0)
	v_div_scale_f32 v3, null, v2, v2, v1
	v_div_scale_f32 v6, vcc_lo, v1, v2, v1
	s_delay_alu instid0(VALU_DEP_2) | instskip(SKIP_2) | instid1(VALU_DEP_1)
	v_rcp_f32_e32 v4, v3
	s_waitcnt_depctr 0xfff
	v_fma_f32 v5, -v3, v4, 1.0
	v_fmac_f32_e32 v4, v5, v4
	s_delay_alu instid0(VALU_DEP_1) | instskip(NEXT) | instid1(VALU_DEP_1)
	v_mul_f32_e32 v5, v6, v4
	v_fma_f32 v7, -v3, v5, v6
	s_delay_alu instid0(VALU_DEP_1) | instskip(NEXT) | instid1(VALU_DEP_1)
	v_fmac_f32_e32 v5, v7, v4
	v_fma_f32 v3, -v3, v5, v6
	s_delay_alu instid0(VALU_DEP_1) | instskip(NEXT) | instid1(VALU_DEP_1)
	v_div_fmas_f32 v3, v3, v4, v5
	v_div_fixup_f32 v1, v3, v2, v1
	s_delay_alu instid0(VALU_DEP_1) | instskip(NEXT) | instid1(VALU_DEP_1)
	v_rndne_f32_e32 v1, v1
	v_cmp_nlt_f32_e32 vcc_lo, 0x42fe0000, v1
	v_cndmask_b32_e32 v2, 0x42fe0000, v1, vcc_lo
	v_cmp_ngt_f32_e32 vcc_lo, 0xc3000000, v1
	s_delay_alu instid0(VALU_DEP_2) | instskip(NEXT) | instid1(VALU_DEP_1)
	v_cndmask_b32_e32 v1, 0xc3000000, v2, vcc_lo
	v_cvt_i32_f32_e32 v2, v1
	v_add_co_ci_u32_e64 v1, null, s0, 0, s1
	global_store_b8 v[0:1], v2, off
	s_nop 0
	s_sendmsg sendmsg(MSG_DEALLOC_VGPRS)
	s_endpgm
	.section	.rodata,"a",@progbits
	.p2align	6, 0x0
	.amdhsa_kernel _ZN4vllm35silu_and_mul_per_block_quant_kernelIN3c108BFloat16EaLb0ELi128EEEvPT0_PfPKT_PKfi
		.amdhsa_group_segment_fixed_size 512
		.amdhsa_private_segment_fixed_size 0
		.amdhsa_kernarg_size 296
		.amdhsa_user_sgpr_count 14
		.amdhsa_user_sgpr_dispatch_ptr 0
		.amdhsa_user_sgpr_queue_ptr 0
		.amdhsa_user_sgpr_kernarg_segment_ptr 1
		.amdhsa_user_sgpr_dispatch_id 0
		.amdhsa_user_sgpr_private_segment_size 0
		.amdhsa_wavefront_size32 1
		.amdhsa_uses_dynamic_stack 0
		.amdhsa_enable_private_segment 0
		.amdhsa_system_sgpr_workgroup_id_x 1
		.amdhsa_system_sgpr_workgroup_id_y 1
		.amdhsa_system_sgpr_workgroup_id_z 0
		.amdhsa_system_sgpr_workgroup_info 0
		.amdhsa_system_vgpr_workitem_id 0
		.amdhsa_next_free_vgpr 9
		.amdhsa_next_free_sgpr 16
		.amdhsa_reserve_vcc 1
		.amdhsa_float_round_mode_32 0
		.amdhsa_float_round_mode_16_64 0
		.amdhsa_float_denorm_mode_32 3
		.amdhsa_float_denorm_mode_16_64 3
		.amdhsa_dx10_clamp 1
		.amdhsa_ieee_mode 1
		.amdhsa_fp16_overflow 0
		.amdhsa_workgroup_processor_mode 1
		.amdhsa_memory_ordered 1
		.amdhsa_forward_progress 0
		.amdhsa_shared_vgpr_count 0
		.amdhsa_exception_fp_ieee_invalid_op 0
		.amdhsa_exception_fp_denorm_src 0
		.amdhsa_exception_fp_ieee_div_zero 0
		.amdhsa_exception_fp_ieee_overflow 0
		.amdhsa_exception_fp_ieee_underflow 0
		.amdhsa_exception_fp_ieee_inexact 0
		.amdhsa_exception_int_div_zero 0
	.end_amdhsa_kernel
	.section	.text._ZN4vllm35silu_and_mul_per_block_quant_kernelIN3c108BFloat16EaLb0ELi128EEEvPT0_PfPKT_PKfi,"axG",@progbits,_ZN4vllm35silu_and_mul_per_block_quant_kernelIN3c108BFloat16EaLb0ELi128EEEvPT0_PfPKT_PKfi,comdat
.Lfunc_end33:
	.size	_ZN4vllm35silu_and_mul_per_block_quant_kernelIN3c108BFloat16EaLb0ELi128EEEvPT0_PfPKT_PKfi, .Lfunc_end33-_ZN4vllm35silu_and_mul_per_block_quant_kernelIN3c108BFloat16EaLb0ELi128EEEvPT0_PfPKT_PKfi
                                        ; -- End function
	.section	.AMDGPU.csdata,"",@progbits
; Kernel info:
; codeLenInByte = 1408
; NumSgprs: 18
; NumVgprs: 9
; ScratchSize: 0
; MemoryBound: 0
; FloatMode: 240
; IeeeMode: 1
; LDSByteSize: 512 bytes/workgroup (compile time only)
; SGPRBlocks: 2
; VGPRBlocks: 1
; NumSGPRsForWavesPerEU: 18
; NumVGPRsForWavesPerEU: 9
; Occupancy: 16
; WaveLimiterHint : 0
; COMPUTE_PGM_RSRC2:SCRATCH_EN: 0
; COMPUTE_PGM_RSRC2:USER_SGPR: 14
; COMPUTE_PGM_RSRC2:TRAP_HANDLER: 0
; COMPUTE_PGM_RSRC2:TGID_X_EN: 1
; COMPUTE_PGM_RSRC2:TGID_Y_EN: 1
; COMPUTE_PGM_RSRC2:TGID_Z_EN: 0
; COMPUTE_PGM_RSRC2:TIDIG_COMP_CNT: 0
	.section	.text._ZN4vllm35silu_and_mul_per_block_quant_kernelIN3c108BFloat16EaLb1ELi64EEEvPT0_PfPKT_PKfi,"axG",@progbits,_ZN4vllm35silu_and_mul_per_block_quant_kernelIN3c108BFloat16EaLb1ELi64EEEvPT0_PfPKT_PKfi,comdat
	.protected	_ZN4vllm35silu_and_mul_per_block_quant_kernelIN3c108BFloat16EaLb1ELi64EEEvPT0_PfPKT_PKfi ; -- Begin function _ZN4vllm35silu_and_mul_per_block_quant_kernelIN3c108BFloat16EaLb1ELi64EEEvPT0_PfPKT_PKfi
	.globl	_ZN4vllm35silu_and_mul_per_block_quant_kernelIN3c108BFloat16EaLb1ELi64EEEvPT0_PfPKT_PKfi
	.p2align	8
	.type	_ZN4vllm35silu_and_mul_per_block_quant_kernelIN3c108BFloat16EaLb1ELi64EEEvPT0_PfPKT_PKfi,@function
_ZN4vllm35silu_and_mul_per_block_quant_kernelIN3c108BFloat16EaLb1ELi64EEEvPT0_PfPKT_PKfi: ; @_ZN4vllm35silu_and_mul_per_block_quant_kernelIN3c108BFloat16EaLb1ELi64EEEvPT0_PfPKT_PKfi
; %bb.0:
	s_clause 0x2
	s_load_b32 s4, s[0:1], 0x20
	s_load_b64 s[8:9], s[0:1], 0x10
	s_load_b32 s3, s[0:1], 0x28
	s_lshl_b32 s6, s15, 6
	v_lshlrev_b32_e32 v1, 1, v0
	s_mov_b32 s2, s15
	s_waitcnt lgkmcnt(0)
	s_mul_i32 s5, s14, s4
	s_delay_alu instid0(SALU_CYCLE_1) | instskip(SKIP_2) | instid1(SALU_CYCLE_1)
	s_lshl_b32 s10, s5, 1
	s_ashr_i32 s5, s4, 31
	s_ashr_i32 s11, s10, 31
	s_lshl_b64 s[10:11], s[10:11], 1
	s_delay_alu instid0(SALU_CYCLE_1) | instskip(SKIP_2) | instid1(SALU_CYCLE_1)
	s_add_u32 s10, s8, s10
	s_addc_u32 s11, s9, s11
	s_ashr_i32 s7, s6, 31
	s_lshl_b64 s[8:9], s[6:7], 1
	s_delay_alu instid0(SALU_CYCLE_1)
	s_add_u32 s8, s10, s8
	s_addc_u32 s9, s11, s9
	s_lshl_b64 s[10:11], s[4:5], 1
	global_load_u16 v2, v1, s[8:9]
	s_add_u32 s8, s8, s10
	s_addc_u32 s9, s9, s11
	s_mov_b32 s5, exec_lo
	s_waitcnt vmcnt(0)
	v_lshlrev_b32_e32 v2, 16, v2
	s_delay_alu instid0(VALU_DEP_1) | instskip(NEXT) | instid1(VALU_DEP_1)
	v_mul_f32_e32 v3, 0xbfb8aa3b, v2
	v_fma_f32 v4, 0xbfb8aa3b, v2, -v3
	v_rndne_f32_e32 v5, v3
	s_delay_alu instid0(VALU_DEP_1) | instskip(SKIP_4) | instid1(VALU_DEP_2)
	v_dual_sub_f32 v3, v3, v5 :: v_dual_fmamk_f32 v4, v2, 0xb2a5705f, v4
	global_load_u16 v1, v1, s[8:9]
	v_cmp_nlt_f32_e32 vcc_lo, 0x42ce8ed0, v2
	v_add_f32_e32 v3, v3, v4
	v_cvt_i32_f32_e32 v4, v5
	v_exp_f32_e32 v3, v3
	s_waitcnt_depctr 0xfff
	v_ldexp_f32 v3, v3, v4
	s_delay_alu instid0(VALU_DEP_1) | instskip(SKIP_1) | instid1(VALU_DEP_2)
	v_cndmask_b32_e32 v3, 0, v3, vcc_lo
	v_cmp_ngt_f32_e32 vcc_lo, 0xc2b17218, v2
	v_cndmask_b32_e32 v3, 0x7f800000, v3, vcc_lo
	s_delay_alu instid0(VALU_DEP_1) | instskip(NEXT) | instid1(VALU_DEP_1)
	v_add_f32_e32 v3, 1.0, v3
	v_div_scale_f32 v4, null, v3, v3, 1.0
	v_div_scale_f32 v7, vcc_lo, 1.0, v3, 1.0
	s_delay_alu instid0(VALU_DEP_2) | instskip(SKIP_2) | instid1(VALU_DEP_1)
	v_rcp_f32_e32 v5, v4
	s_waitcnt_depctr 0xfff
	v_fma_f32 v6, -v4, v5, 1.0
	v_fmac_f32_e32 v5, v6, v5
	s_delay_alu instid0(VALU_DEP_1) | instskip(NEXT) | instid1(VALU_DEP_1)
	v_mul_f32_e32 v6, v7, v5
	v_fma_f32 v8, -v4, v6, v7
	s_delay_alu instid0(VALU_DEP_1) | instskip(NEXT) | instid1(VALU_DEP_1)
	v_fmac_f32_e32 v6, v8, v5
	v_fma_f32 v4, -v4, v6, v7
	s_delay_alu instid0(VALU_DEP_1) | instskip(NEXT) | instid1(VALU_DEP_1)
	v_div_fmas_f32 v4, v4, v5, v6
	v_div_fixup_f32 v3, v4, v3, 1.0
	s_waitcnt vmcnt(0)
	s_delay_alu instid0(VALU_DEP_1) | instskip(NEXT) | instid1(VALU_DEP_1)
	v_dual_mul_f32 v2, v3, v2 :: v_dual_lshlrev_b32 v1, 16, v1
	v_dual_mul_f32 v1, v2, v1 :: v_dual_lshlrev_b32 v2, 2, v0
	s_delay_alu instid0(VALU_DEP_1)
	v_and_b32_e32 v3, 0x7fffffff, v1
	ds_store_b32 v2, v3
	s_waitcnt lgkmcnt(0)
	s_barrier
	buffer_gl0_inv
	v_cmpx_gt_u32_e32 32, v0
	s_cbranch_execz .LBB34_2
; %bb.1:
	ds_load_2addr_b32 v[3:4], v2 offset1:32
	s_waitcnt lgkmcnt(0)
	v_dual_max_f32 v4, v4, v4 :: v_dual_max_f32 v3, v3, v3
	s_delay_alu instid0(VALU_DEP_1)
	v_max_f32_e32 v3, v3, v4
	ds_store_b32 v2, v3
.LBB34_2:
	s_or_b32 exec_lo, exec_lo, s5
	s_delay_alu instid0(SALU_CYCLE_1)
	s_mov_b32 s5, exec_lo
	s_waitcnt lgkmcnt(0)
	s_barrier
	buffer_gl0_inv
	v_cmpx_gt_u32_e32 16, v0
	s_cbranch_execz .LBB34_4
; %bb.3:
	ds_load_2addr_b32 v[3:4], v2 offset1:16
	s_waitcnt lgkmcnt(0)
	v_dual_max_f32 v4, v4, v4 :: v_dual_max_f32 v3, v3, v3
	s_delay_alu instid0(VALU_DEP_1)
	v_max_f32_e32 v3, v3, v4
	ds_store_b32 v2, v3
.LBB34_4:
	s_or_b32 exec_lo, exec_lo, s5
	s_delay_alu instid0(SALU_CYCLE_1)
	s_mov_b32 s5, exec_lo
	;; [unrolled: 16-line block ×4, first 2 shown]
	s_waitcnt lgkmcnt(0)
	s_barrier
	buffer_gl0_inv
	v_cmpx_gt_u32_e32 2, v0
	s_cbranch_execz .LBB34_10
; %bb.9:
	ds_load_2addr_b32 v[3:4], v2 offset1:2
	s_waitcnt lgkmcnt(0)
	v_dual_max_f32 v4, v4, v4 :: v_dual_max_f32 v3, v3, v3
	s_delay_alu instid0(VALU_DEP_1)
	v_max_f32_e32 v3, v3, v4
	ds_store_b32 v2, v3
.LBB34_10:
	s_or_b32 exec_lo, exec_lo, s5
	v_cmp_eq_u32_e32 vcc_lo, 0, v0
	s_waitcnt lgkmcnt(0)
	s_barrier
	buffer_gl0_inv
	s_and_saveexec_b32 s5, vcc_lo
	s_cbranch_execz .LBB34_12
; %bb.11:
	v_mov_b32_e32 v3, 0
	ds_load_b32 v3, v3 offset:4
	ds_load_b32 v4, v2
	s_waitcnt lgkmcnt(0)
	v_dual_max_f32 v3, v3, v3 :: v_dual_max_f32 v4, v4, v4
	s_delay_alu instid0(VALU_DEP_1)
	v_max_f32_e32 v3, v4, v3
	ds_store_b32 v2, v3
.LBB34_12:
	s_or_b32 exec_lo, exec_lo, s5
	s_load_b64 s[8:9], s[0:1], 0x0
	s_ashr_i32 s15, s14, 31
	s_waitcnt lgkmcnt(0)
	s_barrier
	buffer_gl0_inv
	s_and_saveexec_b32 s5, vcc_lo
	s_cbranch_execz .LBB34_16
; %bb.13:
	v_mov_b32_e32 v2, 0
	ds_load_b32 v3, v2
	s_clause 0x1
	s_load_b64 s[10:11], s[0:1], 0x18
	s_load_b64 s[0:1], s[0:1], 0x8
	s_waitcnt lgkmcnt(0)
	s_cmp_eq_u64 s[10:11], 0
	v_div_scale_f32 v4, null, 0x42fe0000, 0x42fe0000, v3
	s_delay_alu instid0(VALU_DEP_1) | instskip(SKIP_2) | instid1(VALU_DEP_1)
	v_rcp_f32_e32 v5, v4
	s_waitcnt_depctr 0xfff
	v_fma_f32 v6, -v4, v5, 1.0
	v_fmac_f32_e32 v5, v6, v5
	v_div_scale_f32 v6, vcc_lo, v3, 0x42fe0000, v3
	s_delay_alu instid0(VALU_DEP_1) | instskip(NEXT) | instid1(VALU_DEP_1)
	v_mul_f32_e32 v7, v6, v5
	v_fma_f32 v8, -v4, v7, v6
	s_delay_alu instid0(VALU_DEP_1) | instskip(NEXT) | instid1(VALU_DEP_1)
	v_fmac_f32_e32 v7, v8, v5
	v_fma_f32 v4, -v4, v7, v6
	s_delay_alu instid0(VALU_DEP_1) | instskip(NEXT) | instid1(VALU_DEP_1)
	v_div_fmas_f32 v4, v4, v5, v7
	v_div_fixup_f32 v3, v4, 0x42fe0000, v3
	s_cbranch_scc1 .LBB34_15
; %bb.14:
	s_load_b32 s10, s[10:11], 0x0
	s_delay_alu instid0(VALU_DEP_1) | instskip(SKIP_2) | instid1(VALU_DEP_1)
	v_max_f32_e32 v3, v3, v3
	s_waitcnt lgkmcnt(0)
	v_max_f32_e64 v4, s10, s10
	v_min_f32_e32 v3, v3, v4
.LBB34_15:
	s_mul_i32 s2, s3, s2
	s_delay_alu instid0(VALU_DEP_1) | instskip(SKIP_1) | instid1(SALU_CYCLE_1)
	v_max_f32_e32 v3, v3, v3
	s_ashr_i32 s3, s2, 31
	s_lshl_b64 s[2:3], s[2:3], 2
	s_delay_alu instid0(VALU_DEP_1) | instskip(SKIP_3) | instid1(SALU_CYCLE_1)
	v_max_f32_e32 v3, 0x34000000, v3
	s_add_u32 s2, s0, s2
	s_addc_u32 s3, s1, s3
	s_lshl_b64 s[0:1], s[14:15], 2
	s_add_u32 s0, s2, s0
	s_addc_u32 s1, s3, s1
	ds_store_b32 v2, v3
	global_store_b32 v2, v3, s[0:1]
.LBB34_16:
	s_or_b32 exec_lo, exec_lo, s5
	v_mov_b32_e32 v2, 0
	s_waitcnt lgkmcnt(0)
	s_waitcnt_vscnt null, 0x0
	s_barrier
	buffer_gl0_inv
	s_mul_i32 s0, s14, s4
	ds_load_b32 v2, v2
	s_ashr_i32 s1, s0, 31
	s_add_u32 s0, s8, s0
	s_addc_u32 s1, s9, s1
	s_add_u32 s0, s0, s6
	s_addc_u32 s1, s1, s7
	v_add_co_u32 v0, s0, s0, v0
	s_waitcnt lgkmcnt(0)
	v_div_scale_f32 v3, null, v2, v2, v1
	v_div_scale_f32 v6, vcc_lo, v1, v2, v1
	s_delay_alu instid0(VALU_DEP_2) | instskip(SKIP_2) | instid1(VALU_DEP_1)
	v_rcp_f32_e32 v4, v3
	s_waitcnt_depctr 0xfff
	v_fma_f32 v5, -v3, v4, 1.0
	v_fmac_f32_e32 v4, v5, v4
	s_delay_alu instid0(VALU_DEP_1) | instskip(NEXT) | instid1(VALU_DEP_1)
	v_mul_f32_e32 v5, v6, v4
	v_fma_f32 v7, -v3, v5, v6
	s_delay_alu instid0(VALU_DEP_1) | instskip(NEXT) | instid1(VALU_DEP_1)
	v_fmac_f32_e32 v5, v7, v4
	v_fma_f32 v3, -v3, v5, v6
	s_delay_alu instid0(VALU_DEP_1) | instskip(NEXT) | instid1(VALU_DEP_1)
	v_div_fmas_f32 v3, v3, v4, v5
	v_div_fixup_f32 v1, v3, v2, v1
	s_delay_alu instid0(VALU_DEP_1) | instskip(NEXT) | instid1(VALU_DEP_1)
	v_rndne_f32_e32 v1, v1
	v_cmp_nlt_f32_e32 vcc_lo, 0x42fe0000, v1
	v_cndmask_b32_e32 v2, 0x42fe0000, v1, vcc_lo
	v_cmp_ngt_f32_e32 vcc_lo, 0xc3000000, v1
	s_delay_alu instid0(VALU_DEP_2) | instskip(NEXT) | instid1(VALU_DEP_1)
	v_cndmask_b32_e32 v1, 0xc3000000, v2, vcc_lo
	v_cvt_i32_f32_e32 v2, v1
	v_add_co_ci_u32_e64 v1, null, s1, 0, s0
	global_store_b8 v[0:1], v2, off
	s_nop 0
	s_sendmsg sendmsg(MSG_DEALLOC_VGPRS)
	s_endpgm
	.section	.rodata,"a",@progbits
	.p2align	6, 0x0
	.amdhsa_kernel _ZN4vllm35silu_and_mul_per_block_quant_kernelIN3c108BFloat16EaLb1ELi64EEEvPT0_PfPKT_PKfi
		.amdhsa_group_segment_fixed_size 256
		.amdhsa_private_segment_fixed_size 0
		.amdhsa_kernarg_size 296
		.amdhsa_user_sgpr_count 14
		.amdhsa_user_sgpr_dispatch_ptr 0
		.amdhsa_user_sgpr_queue_ptr 0
		.amdhsa_user_sgpr_kernarg_segment_ptr 1
		.amdhsa_user_sgpr_dispatch_id 0
		.amdhsa_user_sgpr_private_segment_size 0
		.amdhsa_wavefront_size32 1
		.amdhsa_uses_dynamic_stack 0
		.amdhsa_enable_private_segment 0
		.amdhsa_system_sgpr_workgroup_id_x 1
		.amdhsa_system_sgpr_workgroup_id_y 1
		.amdhsa_system_sgpr_workgroup_id_z 0
		.amdhsa_system_sgpr_workgroup_info 0
		.amdhsa_system_vgpr_workitem_id 0
		.amdhsa_next_free_vgpr 9
		.amdhsa_next_free_sgpr 16
		.amdhsa_reserve_vcc 1
		.amdhsa_float_round_mode_32 0
		.amdhsa_float_round_mode_16_64 0
		.amdhsa_float_denorm_mode_32 3
		.amdhsa_float_denorm_mode_16_64 3
		.amdhsa_dx10_clamp 1
		.amdhsa_ieee_mode 1
		.amdhsa_fp16_overflow 0
		.amdhsa_workgroup_processor_mode 1
		.amdhsa_memory_ordered 1
		.amdhsa_forward_progress 0
		.amdhsa_shared_vgpr_count 0
		.amdhsa_exception_fp_ieee_invalid_op 0
		.amdhsa_exception_fp_denorm_src 0
		.amdhsa_exception_fp_ieee_div_zero 0
		.amdhsa_exception_fp_ieee_overflow 0
		.amdhsa_exception_fp_ieee_underflow 0
		.amdhsa_exception_fp_ieee_inexact 0
		.amdhsa_exception_int_div_zero 0
	.end_amdhsa_kernel
	.section	.text._ZN4vllm35silu_and_mul_per_block_quant_kernelIN3c108BFloat16EaLb1ELi64EEEvPT0_PfPKT_PKfi,"axG",@progbits,_ZN4vllm35silu_and_mul_per_block_quant_kernelIN3c108BFloat16EaLb1ELi64EEEvPT0_PfPKT_PKfi,comdat
.Lfunc_end34:
	.size	_ZN4vllm35silu_and_mul_per_block_quant_kernelIN3c108BFloat16EaLb1ELi64EEEvPT0_PfPKT_PKfi, .Lfunc_end34-_ZN4vllm35silu_and_mul_per_block_quant_kernelIN3c108BFloat16EaLb1ELi64EEEvPT0_PfPKT_PKfi
                                        ; -- End function
	.section	.AMDGPU.csdata,"",@progbits
; Kernel info:
; codeLenInByte = 1340
; NumSgprs: 18
; NumVgprs: 9
; ScratchSize: 0
; MemoryBound: 0
; FloatMode: 240
; IeeeMode: 1
; LDSByteSize: 256 bytes/workgroup (compile time only)
; SGPRBlocks: 2
; VGPRBlocks: 1
; NumSGPRsForWavesPerEU: 18
; NumVGPRsForWavesPerEU: 9
; Occupancy: 16
; WaveLimiterHint : 0
; COMPUTE_PGM_RSRC2:SCRATCH_EN: 0
; COMPUTE_PGM_RSRC2:USER_SGPR: 14
; COMPUTE_PGM_RSRC2:TRAP_HANDLER: 0
; COMPUTE_PGM_RSRC2:TGID_X_EN: 1
; COMPUTE_PGM_RSRC2:TGID_Y_EN: 1
; COMPUTE_PGM_RSRC2:TGID_Z_EN: 0
; COMPUTE_PGM_RSRC2:TIDIG_COMP_CNT: 0
	.section	.text._ZN4vllm35silu_and_mul_per_block_quant_kernelIN3c108BFloat16EaLb0ELi64EEEvPT0_PfPKT_PKfi,"axG",@progbits,_ZN4vllm35silu_and_mul_per_block_quant_kernelIN3c108BFloat16EaLb0ELi64EEEvPT0_PfPKT_PKfi,comdat
	.protected	_ZN4vllm35silu_and_mul_per_block_quant_kernelIN3c108BFloat16EaLb0ELi64EEEvPT0_PfPKT_PKfi ; -- Begin function _ZN4vllm35silu_and_mul_per_block_quant_kernelIN3c108BFloat16EaLb0ELi64EEEvPT0_PfPKT_PKfi
	.globl	_ZN4vllm35silu_and_mul_per_block_quant_kernelIN3c108BFloat16EaLb0ELi64EEEvPT0_PfPKT_PKfi
	.p2align	8
	.type	_ZN4vllm35silu_and_mul_per_block_quant_kernelIN3c108BFloat16EaLb0ELi64EEEvPT0_PfPKT_PKfi,@function
_ZN4vllm35silu_and_mul_per_block_quant_kernelIN3c108BFloat16EaLb0ELi64EEEvPT0_PfPKT_PKfi: ; @_ZN4vllm35silu_and_mul_per_block_quant_kernelIN3c108BFloat16EaLb0ELi64EEEvPT0_PfPKT_PKfi
; %bb.0:
	s_clause 0x2
	s_load_b32 s6, s[0:1], 0x20
	s_load_b64 s[8:9], s[0:1], 0x10
	s_load_b32 s5, s[0:1], 0x2c
	s_lshl_b32 s2, s15, 6
	v_lshlrev_b32_e32 v1, 1, v0
	s_mov_b32 s4, s15
	s_waitcnt lgkmcnt(0)
	s_mul_i32 s10, s14, s6
	s_ashr_i32 s7, s6, 31
	s_lshl_b32 s12, s10, 1
	s_delay_alu instid0(SALU_CYCLE_1) | instskip(NEXT) | instid1(SALU_CYCLE_1)
	s_ashr_i32 s13, s12, 31
	s_lshl_b64 s[12:13], s[12:13], 1
	s_delay_alu instid0(SALU_CYCLE_1) | instskip(SKIP_2) | instid1(SALU_CYCLE_1)
	s_add_u32 s11, s8, s12
	s_addc_u32 s12, s9, s13
	s_ashr_i32 s3, s2, 31
	s_lshl_b64 s[8:9], s[2:3], 1
	s_delay_alu instid0(SALU_CYCLE_1)
	s_add_u32 s8, s11, s8
	s_addc_u32 s9, s12, s9
	s_lshl_b64 s[6:7], s[6:7], 1
	global_load_u16 v2, v1, s[8:9]
	s_add_u32 s6, s8, s6
	s_addc_u32 s7, s9, s7
	s_waitcnt vmcnt(0)
	v_lshlrev_b32_e32 v2, 16, v2
	s_delay_alu instid0(VALU_DEP_1) | instskip(NEXT) | instid1(VALU_DEP_1)
	v_mul_f32_e32 v3, 0xbfb8aa3b, v2
	v_fma_f32 v4, 0xbfb8aa3b, v2, -v3
	v_rndne_f32_e32 v5, v3
	s_delay_alu instid0(VALU_DEP_1)
	v_dual_sub_f32 v3, v3, v5 :: v_dual_fmamk_f32 v4, v2, 0xb2a5705f, v4
	global_load_u16 v1, v1, s[6:7]
	v_cmp_nlt_f32_e32 vcc_lo, 0x42ce8ed0, v2
	s_mov_b32 s6, exec_lo
	v_add_f32_e32 v3, v3, v4
	v_cvt_i32_f32_e32 v4, v5
	s_delay_alu instid0(VALU_DEP_2) | instskip(SKIP_2) | instid1(VALU_DEP_1)
	v_exp_f32_e32 v3, v3
	s_waitcnt_depctr 0xfff
	v_ldexp_f32 v3, v3, v4
	v_cndmask_b32_e32 v3, 0, v3, vcc_lo
	v_cmp_ngt_f32_e32 vcc_lo, 0xc2b17218, v2
	s_delay_alu instid0(VALU_DEP_2) | instskip(NEXT) | instid1(VALU_DEP_1)
	v_cndmask_b32_e32 v3, 0x7f800000, v3, vcc_lo
	v_add_f32_e32 v3, 1.0, v3
	s_delay_alu instid0(VALU_DEP_1) | instskip(SKIP_1) | instid1(VALU_DEP_2)
	v_div_scale_f32 v4, null, v3, v3, 1.0
	v_div_scale_f32 v7, vcc_lo, 1.0, v3, 1.0
	v_rcp_f32_e32 v5, v4
	s_waitcnt_depctr 0xfff
	v_fma_f32 v6, -v4, v5, 1.0
	s_delay_alu instid0(VALU_DEP_1) | instskip(NEXT) | instid1(VALU_DEP_1)
	v_fmac_f32_e32 v5, v6, v5
	v_mul_f32_e32 v6, v7, v5
	s_delay_alu instid0(VALU_DEP_1) | instskip(NEXT) | instid1(VALU_DEP_1)
	v_fma_f32 v8, -v4, v6, v7
	v_fmac_f32_e32 v6, v8, v5
	s_delay_alu instid0(VALU_DEP_1) | instskip(NEXT) | instid1(VALU_DEP_1)
	v_fma_f32 v4, -v4, v6, v7
	v_div_fmas_f32 v4, v4, v5, v6
	s_delay_alu instid0(VALU_DEP_1) | instskip(SKIP_1) | instid1(VALU_DEP_1)
	v_div_fixup_f32 v3, v4, v3, 1.0
	s_waitcnt vmcnt(0)
	v_dual_mul_f32 v2, v3, v2 :: v_dual_lshlrev_b32 v1, 16, v1
	s_delay_alu instid0(VALU_DEP_1) | instskip(NEXT) | instid1(VALU_DEP_1)
	v_dual_mul_f32 v1, v2, v1 :: v_dual_lshlrev_b32 v2, 2, v0
	v_and_b32_e32 v3, 0x7fffffff, v1
	ds_store_b32 v2, v3
	s_waitcnt lgkmcnt(0)
	s_barrier
	buffer_gl0_inv
	v_cmpx_gt_u32_e32 32, v0
	s_cbranch_execz .LBB35_2
; %bb.1:
	ds_load_2addr_b32 v[3:4], v2 offset1:32
	s_waitcnt lgkmcnt(0)
	v_dual_max_f32 v4, v4, v4 :: v_dual_max_f32 v3, v3, v3
	s_delay_alu instid0(VALU_DEP_1)
	v_max_f32_e32 v3, v3, v4
	ds_store_b32 v2, v3
.LBB35_2:
	s_or_b32 exec_lo, exec_lo, s6
	s_delay_alu instid0(SALU_CYCLE_1)
	s_mov_b32 s6, exec_lo
	s_waitcnt lgkmcnt(0)
	s_barrier
	buffer_gl0_inv
	v_cmpx_gt_u32_e32 16, v0
	s_cbranch_execz .LBB35_4
; %bb.3:
	ds_load_2addr_b32 v[3:4], v2 offset1:16
	s_waitcnt lgkmcnt(0)
	v_dual_max_f32 v4, v4, v4 :: v_dual_max_f32 v3, v3, v3
	s_delay_alu instid0(VALU_DEP_1)
	v_max_f32_e32 v3, v3, v4
	ds_store_b32 v2, v3
.LBB35_4:
	s_or_b32 exec_lo, exec_lo, s6
	s_delay_alu instid0(SALU_CYCLE_1)
	s_mov_b32 s6, exec_lo
	;; [unrolled: 16-line block ×4, first 2 shown]
	s_waitcnt lgkmcnt(0)
	s_barrier
	buffer_gl0_inv
	v_cmpx_gt_u32_e32 2, v0
	s_cbranch_execz .LBB35_10
; %bb.9:
	ds_load_2addr_b32 v[3:4], v2 offset1:2
	s_waitcnt lgkmcnt(0)
	v_dual_max_f32 v4, v4, v4 :: v_dual_max_f32 v3, v3, v3
	s_delay_alu instid0(VALU_DEP_1)
	v_max_f32_e32 v3, v3, v4
	ds_store_b32 v2, v3
.LBB35_10:
	s_or_b32 exec_lo, exec_lo, s6
	v_cmp_eq_u32_e32 vcc_lo, 0, v0
	s_waitcnt lgkmcnt(0)
	s_barrier
	buffer_gl0_inv
	s_and_saveexec_b32 s6, vcc_lo
	s_cbranch_execz .LBB35_12
; %bb.11:
	v_mov_b32_e32 v3, 0
	ds_load_b32 v3, v3 offset:4
	ds_load_b32 v4, v2
	s_waitcnt lgkmcnt(0)
	v_dual_max_f32 v3, v3, v3 :: v_dual_max_f32 v4, v4, v4
	s_delay_alu instid0(VALU_DEP_1)
	v_max_f32_e32 v3, v4, v3
	ds_store_b32 v2, v3
.LBB35_12:
	s_or_b32 exec_lo, exec_lo, s6
	s_load_b64 s[6:7], s[0:1], 0x0
	s_waitcnt lgkmcnt(0)
	s_barrier
	buffer_gl0_inv
	s_and_saveexec_b32 s11, vcc_lo
	s_cbranch_execz .LBB35_16
; %bb.13:
	v_mov_b32_e32 v2, 0
	ds_load_b32 v3, v2
	s_clause 0x1
	s_load_b64 s[8:9], s[0:1], 0x18
	s_load_b64 s[0:1], s[0:1], 0x8
	s_waitcnt lgkmcnt(0)
	s_cmp_eq_u64 s[8:9], 0
	v_div_scale_f32 v4, null, 0x42fe0000, 0x42fe0000, v3
	s_delay_alu instid0(VALU_DEP_1) | instskip(SKIP_2) | instid1(VALU_DEP_1)
	v_rcp_f32_e32 v5, v4
	s_waitcnt_depctr 0xfff
	v_fma_f32 v6, -v4, v5, 1.0
	v_fmac_f32_e32 v5, v6, v5
	v_div_scale_f32 v6, vcc_lo, v3, 0x42fe0000, v3
	s_delay_alu instid0(VALU_DEP_1) | instskip(NEXT) | instid1(VALU_DEP_1)
	v_mul_f32_e32 v7, v6, v5
	v_fma_f32 v8, -v4, v7, v6
	s_delay_alu instid0(VALU_DEP_1) | instskip(NEXT) | instid1(VALU_DEP_1)
	v_fmac_f32_e32 v7, v8, v5
	v_fma_f32 v4, -v4, v7, v6
	s_delay_alu instid0(VALU_DEP_1) | instskip(NEXT) | instid1(VALU_DEP_1)
	v_div_fmas_f32 v4, v4, v5, v7
	v_div_fixup_f32 v3, v4, 0x42fe0000, v3
	s_cbranch_scc1 .LBB35_15
; %bb.14:
	s_load_b32 s8, s[8:9], 0x0
	s_delay_alu instid0(VALU_DEP_1) | instskip(SKIP_2) | instid1(VALU_DEP_1)
	v_max_f32_e32 v3, v3, v3
	s_waitcnt lgkmcnt(0)
	v_max_f32_e64 v4, s8, s8
	v_min_f32_e32 v3, v3, v4
.LBB35_15:
	s_mul_i32 s8, s5, s14
	s_delay_alu instid0(VALU_DEP_1) | instskip(SKIP_3) | instid1(VALU_DEP_1)
	v_max_f32_e32 v3, v3, v3
	s_ashr_i32 s9, s8, 31
	s_ashr_i32 s5, s4, 31
	s_lshl_b64 s[8:9], s[8:9], 2
	v_max_f32_e32 v3, 0x34000000, v3
	s_add_u32 s8, s0, s8
	s_addc_u32 s9, s1, s9
	s_lshl_b64 s[0:1], s[4:5], 2
	s_delay_alu instid0(SALU_CYCLE_1)
	s_add_u32 s0, s8, s0
	s_addc_u32 s1, s9, s1
	ds_store_b32 v2, v3
	global_store_b32 v2, v3, s[0:1]
.LBB35_16:
	s_or_b32 exec_lo, exec_lo, s11
	v_mov_b32_e32 v2, 0
	s_waitcnt lgkmcnt(0)
	s_waitcnt_vscnt null, 0x0
	s_barrier
	buffer_gl0_inv
	s_ashr_i32 s0, s10, 31
	ds_load_b32 v2, v2
	s_add_u32 s1, s6, s10
	s_addc_u32 s0, s7, s0
	s_add_u32 s1, s1, s2
	s_addc_u32 s0, s0, s3
	v_add_co_u32 v0, s1, s1, v0
	s_waitcnt lgkmcnt(0)
	v_div_scale_f32 v3, null, v2, v2, v1
	v_div_scale_f32 v6, vcc_lo, v1, v2, v1
	s_delay_alu instid0(VALU_DEP_2) | instskip(SKIP_2) | instid1(VALU_DEP_1)
	v_rcp_f32_e32 v4, v3
	s_waitcnt_depctr 0xfff
	v_fma_f32 v5, -v3, v4, 1.0
	v_fmac_f32_e32 v4, v5, v4
	s_delay_alu instid0(VALU_DEP_1) | instskip(NEXT) | instid1(VALU_DEP_1)
	v_mul_f32_e32 v5, v6, v4
	v_fma_f32 v7, -v3, v5, v6
	s_delay_alu instid0(VALU_DEP_1) | instskip(NEXT) | instid1(VALU_DEP_1)
	v_fmac_f32_e32 v5, v7, v4
	v_fma_f32 v3, -v3, v5, v6
	s_delay_alu instid0(VALU_DEP_1) | instskip(NEXT) | instid1(VALU_DEP_1)
	v_div_fmas_f32 v3, v3, v4, v5
	v_div_fixup_f32 v1, v3, v2, v1
	s_delay_alu instid0(VALU_DEP_1) | instskip(NEXT) | instid1(VALU_DEP_1)
	v_rndne_f32_e32 v1, v1
	v_cmp_nlt_f32_e32 vcc_lo, 0x42fe0000, v1
	v_cndmask_b32_e32 v2, 0x42fe0000, v1, vcc_lo
	v_cmp_ngt_f32_e32 vcc_lo, 0xc3000000, v1
	s_delay_alu instid0(VALU_DEP_2) | instskip(NEXT) | instid1(VALU_DEP_1)
	v_cndmask_b32_e32 v1, 0xc3000000, v2, vcc_lo
	v_cvt_i32_f32_e32 v2, v1
	v_add_co_ci_u32_e64 v1, null, s0, 0, s1
	global_store_b8 v[0:1], v2, off
	s_nop 0
	s_sendmsg sendmsg(MSG_DEALLOC_VGPRS)
	s_endpgm
	.section	.rodata,"a",@progbits
	.p2align	6, 0x0
	.amdhsa_kernel _ZN4vllm35silu_and_mul_per_block_quant_kernelIN3c108BFloat16EaLb0ELi64EEEvPT0_PfPKT_PKfi
		.amdhsa_group_segment_fixed_size 256
		.amdhsa_private_segment_fixed_size 0
		.amdhsa_kernarg_size 296
		.amdhsa_user_sgpr_count 14
		.amdhsa_user_sgpr_dispatch_ptr 0
		.amdhsa_user_sgpr_queue_ptr 0
		.amdhsa_user_sgpr_kernarg_segment_ptr 1
		.amdhsa_user_sgpr_dispatch_id 0
		.amdhsa_user_sgpr_private_segment_size 0
		.amdhsa_wavefront_size32 1
		.amdhsa_uses_dynamic_stack 0
		.amdhsa_enable_private_segment 0
		.amdhsa_system_sgpr_workgroup_id_x 1
		.amdhsa_system_sgpr_workgroup_id_y 1
		.amdhsa_system_sgpr_workgroup_id_z 0
		.amdhsa_system_sgpr_workgroup_info 0
		.amdhsa_system_vgpr_workitem_id 0
		.amdhsa_next_free_vgpr 9
		.amdhsa_next_free_sgpr 16
		.amdhsa_reserve_vcc 1
		.amdhsa_float_round_mode_32 0
		.amdhsa_float_round_mode_16_64 0
		.amdhsa_float_denorm_mode_32 3
		.amdhsa_float_denorm_mode_16_64 3
		.amdhsa_dx10_clamp 1
		.amdhsa_ieee_mode 1
		.amdhsa_fp16_overflow 0
		.amdhsa_workgroup_processor_mode 1
		.amdhsa_memory_ordered 1
		.amdhsa_forward_progress 0
		.amdhsa_shared_vgpr_count 0
		.amdhsa_exception_fp_ieee_invalid_op 0
		.amdhsa_exception_fp_denorm_src 0
		.amdhsa_exception_fp_ieee_div_zero 0
		.amdhsa_exception_fp_ieee_overflow 0
		.amdhsa_exception_fp_ieee_underflow 0
		.amdhsa_exception_fp_ieee_inexact 0
		.amdhsa_exception_int_div_zero 0
	.end_amdhsa_kernel
	.section	.text._ZN4vllm35silu_and_mul_per_block_quant_kernelIN3c108BFloat16EaLb0ELi64EEEvPT0_PfPKT_PKfi,"axG",@progbits,_ZN4vllm35silu_and_mul_per_block_quant_kernelIN3c108BFloat16EaLb0ELi64EEEvPT0_PfPKT_PKfi,comdat
.Lfunc_end35:
	.size	_ZN4vllm35silu_and_mul_per_block_quant_kernelIN3c108BFloat16EaLb0ELi64EEEvPT0_PfPKT_PKfi, .Lfunc_end35-_ZN4vllm35silu_and_mul_per_block_quant_kernelIN3c108BFloat16EaLb0ELi64EEEvPT0_PfPKT_PKfi
                                        ; -- End function
	.section	.AMDGPU.csdata,"",@progbits
; Kernel info:
; codeLenInByte = 1336
; NumSgprs: 18
; NumVgprs: 9
; ScratchSize: 0
; MemoryBound: 0
; FloatMode: 240
; IeeeMode: 1
; LDSByteSize: 256 bytes/workgroup (compile time only)
; SGPRBlocks: 2
; VGPRBlocks: 1
; NumSGPRsForWavesPerEU: 18
; NumVGPRsForWavesPerEU: 9
; Occupancy: 16
; WaveLimiterHint : 0
; COMPUTE_PGM_RSRC2:SCRATCH_EN: 0
; COMPUTE_PGM_RSRC2:USER_SGPR: 14
; COMPUTE_PGM_RSRC2:TRAP_HANDLER: 0
; COMPUTE_PGM_RSRC2:TGID_X_EN: 1
; COMPUTE_PGM_RSRC2:TGID_Y_EN: 1
; COMPUTE_PGM_RSRC2:TGID_Z_EN: 0
; COMPUTE_PGM_RSRC2:TIDIG_COMP_CNT: 0
	.text
	.p2alignl 7, 3214868480
	.fill 96, 4, 3214868480
	.type	__hip_cuid_f0e3723b7af3066f,@object ; @__hip_cuid_f0e3723b7af3066f
	.section	.bss,"aw",@nobits
	.globl	__hip_cuid_f0e3723b7af3066f
__hip_cuid_f0e3723b7af3066f:
	.byte	0                               ; 0x0
	.size	__hip_cuid_f0e3723b7af3066f, 1

	.ident	"AMD clang version 19.0.0git (https://github.com/RadeonOpenCompute/llvm-project roc-6.4.0 25133 c7fe45cf4b819c5991fe208aaa96edf142730f1d)"
	.section	".note.GNU-stack","",@progbits
	.addrsig
	.addrsig_sym __hip_cuid_f0e3723b7af3066f
	.amdgpu_metadata
---
amdhsa.kernels:
  - .args:
      - .actual_access:  write_only
        .address_space:  global
        .offset:         0
        .size:           8
        .value_kind:     global_buffer
      - .actual_access:  write_only
        .address_space:  global
        .offset:         8
        .size:           8
        .value_kind:     global_buffer
      - .actual_access:  read_only
        .address_space:  global
        .offset:         16
        .size:           8
        .value_kind:     global_buffer
      - .address_space:  global
        .offset:         24
        .size:           8
        .value_kind:     global_buffer
      - .offset:         32
        .size:           4
        .value_kind:     by_value
      - .offset:         40
        .size:           4
        .value_kind:     hidden_block_count_x
      - .offset:         44
        .size:           4
        .value_kind:     hidden_block_count_y
      - .offset:         48
        .size:           4
        .value_kind:     hidden_block_count_z
      - .offset:         52
        .size:           2
        .value_kind:     hidden_group_size_x
      - .offset:         54
        .size:           2
        .value_kind:     hidden_group_size_y
      - .offset:         56
        .size:           2
        .value_kind:     hidden_group_size_z
      - .offset:         58
        .size:           2
        .value_kind:     hidden_remainder_x
      - .offset:         60
        .size:           2
        .value_kind:     hidden_remainder_y
      - .offset:         62
        .size:           2
        .value_kind:     hidden_remainder_z
      - .offset:         80
        .size:           8
        .value_kind:     hidden_global_offset_x
      - .offset:         88
        .size:           8
        .value_kind:     hidden_global_offset_y
      - .offset:         96
        .size:           8
        .value_kind:     hidden_global_offset_z
      - .offset:         104
        .size:           2
        .value_kind:     hidden_grid_dims
    .group_segment_fixed_size: 512
    .kernarg_segment_align: 8
    .kernarg_segment_size: 296
    .language:       OpenCL C
    .language_version:
      - 2
      - 0
    .max_flat_workgroup_size: 1024
    .name:           _ZN4vllm35silu_and_mul_per_block_quant_kernelIfN3c1013Float8_e4m3fnELb1ELi128EEEvPT0_PfPKT_PKfi
    .private_segment_fixed_size: 0
    .sgpr_count:     18
    .sgpr_spill_count: 0
    .symbol:         _ZN4vllm35silu_and_mul_per_block_quant_kernelIfN3c1013Float8_e4m3fnELb1ELi128EEEvPT0_PfPKT_PKfi.kd
    .uniform_work_group_size: 1
    .uses_dynamic_stack: false
    .vgpr_count:     10
    .vgpr_spill_count: 0
    .wavefront_size: 32
    .workgroup_processor_mode: 1
  - .args:
      - .actual_access:  write_only
        .address_space:  global
        .offset:         0
        .size:           8
        .value_kind:     global_buffer
      - .actual_access:  write_only
        .address_space:  global
        .offset:         8
        .size:           8
        .value_kind:     global_buffer
      - .actual_access:  read_only
        .address_space:  global
        .offset:         16
        .size:           8
        .value_kind:     global_buffer
      - .address_space:  global
        .offset:         24
        .size:           8
        .value_kind:     global_buffer
      - .offset:         32
        .size:           4
        .value_kind:     by_value
      - .offset:         40
        .size:           4
        .value_kind:     hidden_block_count_x
      - .offset:         44
        .size:           4
        .value_kind:     hidden_block_count_y
      - .offset:         48
        .size:           4
        .value_kind:     hidden_block_count_z
      - .offset:         52
        .size:           2
        .value_kind:     hidden_group_size_x
      - .offset:         54
        .size:           2
        .value_kind:     hidden_group_size_y
      - .offset:         56
        .size:           2
        .value_kind:     hidden_group_size_z
      - .offset:         58
        .size:           2
        .value_kind:     hidden_remainder_x
      - .offset:         60
        .size:           2
        .value_kind:     hidden_remainder_y
      - .offset:         62
        .size:           2
        .value_kind:     hidden_remainder_z
      - .offset:         80
        .size:           8
        .value_kind:     hidden_global_offset_x
      - .offset:         88
        .size:           8
        .value_kind:     hidden_global_offset_y
      - .offset:         96
        .size:           8
        .value_kind:     hidden_global_offset_z
      - .offset:         104
        .size:           2
        .value_kind:     hidden_grid_dims
    .group_segment_fixed_size: 512
    .kernarg_segment_align: 8
    .kernarg_segment_size: 296
    .language:       OpenCL C
    .language_version:
      - 2
      - 0
    .max_flat_workgroup_size: 1024
    .name:           _ZN4vllm35silu_and_mul_per_block_quant_kernelIfN3c1013Float8_e4m3fnELb0ELi128EEEvPT0_PfPKT_PKfi
    .private_segment_fixed_size: 0
    .sgpr_count:     18
    .sgpr_spill_count: 0
    .symbol:         _ZN4vllm35silu_and_mul_per_block_quant_kernelIfN3c1013Float8_e4m3fnELb0ELi128EEEvPT0_PfPKT_PKfi.kd
    .uniform_work_group_size: 1
    .uses_dynamic_stack: false
    .vgpr_count:     10
    .vgpr_spill_count: 0
    .wavefront_size: 32
    .workgroup_processor_mode: 1
  - .args:
      - .actual_access:  write_only
        .address_space:  global
        .offset:         0
        .size:           8
        .value_kind:     global_buffer
      - .actual_access:  write_only
        .address_space:  global
        .offset:         8
        .size:           8
        .value_kind:     global_buffer
      - .actual_access:  read_only
        .address_space:  global
        .offset:         16
        .size:           8
        .value_kind:     global_buffer
      - .address_space:  global
        .offset:         24
        .size:           8
        .value_kind:     global_buffer
      - .offset:         32
        .size:           4
        .value_kind:     by_value
      - .offset:         40
        .size:           4
        .value_kind:     hidden_block_count_x
      - .offset:         44
        .size:           4
        .value_kind:     hidden_block_count_y
      - .offset:         48
        .size:           4
        .value_kind:     hidden_block_count_z
      - .offset:         52
        .size:           2
        .value_kind:     hidden_group_size_x
      - .offset:         54
        .size:           2
        .value_kind:     hidden_group_size_y
      - .offset:         56
        .size:           2
        .value_kind:     hidden_group_size_z
      - .offset:         58
        .size:           2
        .value_kind:     hidden_remainder_x
      - .offset:         60
        .size:           2
        .value_kind:     hidden_remainder_y
      - .offset:         62
        .size:           2
        .value_kind:     hidden_remainder_z
      - .offset:         80
        .size:           8
        .value_kind:     hidden_global_offset_x
      - .offset:         88
        .size:           8
        .value_kind:     hidden_global_offset_y
      - .offset:         96
        .size:           8
        .value_kind:     hidden_global_offset_z
      - .offset:         104
        .size:           2
        .value_kind:     hidden_grid_dims
    .group_segment_fixed_size: 256
    .kernarg_segment_align: 8
    .kernarg_segment_size: 296
    .language:       OpenCL C
    .language_version:
      - 2
      - 0
    .max_flat_workgroup_size: 1024
    .name:           _ZN4vllm35silu_and_mul_per_block_quant_kernelIfN3c1013Float8_e4m3fnELb1ELi64EEEvPT0_PfPKT_PKfi
    .private_segment_fixed_size: 0
    .sgpr_count:     18
    .sgpr_spill_count: 0
    .symbol:         _ZN4vllm35silu_and_mul_per_block_quant_kernelIfN3c1013Float8_e4m3fnELb1ELi64EEEvPT0_PfPKT_PKfi.kd
    .uniform_work_group_size: 1
    .uses_dynamic_stack: false
    .vgpr_count:     10
    .vgpr_spill_count: 0
    .wavefront_size: 32
    .workgroup_processor_mode: 1
  - .args:
      - .actual_access:  write_only
        .address_space:  global
        .offset:         0
        .size:           8
        .value_kind:     global_buffer
      - .actual_access:  write_only
        .address_space:  global
        .offset:         8
        .size:           8
        .value_kind:     global_buffer
      - .actual_access:  read_only
        .address_space:  global
        .offset:         16
        .size:           8
        .value_kind:     global_buffer
      - .address_space:  global
        .offset:         24
        .size:           8
        .value_kind:     global_buffer
      - .offset:         32
        .size:           4
        .value_kind:     by_value
      - .offset:         40
        .size:           4
        .value_kind:     hidden_block_count_x
      - .offset:         44
        .size:           4
        .value_kind:     hidden_block_count_y
      - .offset:         48
        .size:           4
        .value_kind:     hidden_block_count_z
      - .offset:         52
        .size:           2
        .value_kind:     hidden_group_size_x
      - .offset:         54
        .size:           2
        .value_kind:     hidden_group_size_y
      - .offset:         56
        .size:           2
        .value_kind:     hidden_group_size_z
      - .offset:         58
        .size:           2
        .value_kind:     hidden_remainder_x
      - .offset:         60
        .size:           2
        .value_kind:     hidden_remainder_y
      - .offset:         62
        .size:           2
        .value_kind:     hidden_remainder_z
      - .offset:         80
        .size:           8
        .value_kind:     hidden_global_offset_x
      - .offset:         88
        .size:           8
        .value_kind:     hidden_global_offset_y
      - .offset:         96
        .size:           8
        .value_kind:     hidden_global_offset_z
      - .offset:         104
        .size:           2
        .value_kind:     hidden_grid_dims
    .group_segment_fixed_size: 256
    .kernarg_segment_align: 8
    .kernarg_segment_size: 296
    .language:       OpenCL C
    .language_version:
      - 2
      - 0
    .max_flat_workgroup_size: 1024
    .name:           _ZN4vllm35silu_and_mul_per_block_quant_kernelIfN3c1013Float8_e4m3fnELb0ELi64EEEvPT0_PfPKT_PKfi
    .private_segment_fixed_size: 0
    .sgpr_count:     18
    .sgpr_spill_count: 0
    .symbol:         _ZN4vllm35silu_and_mul_per_block_quant_kernelIfN3c1013Float8_e4m3fnELb0ELi64EEEvPT0_PfPKT_PKfi.kd
    .uniform_work_group_size: 1
    .uses_dynamic_stack: false
    .vgpr_count:     10
    .vgpr_spill_count: 0
    .wavefront_size: 32
    .workgroup_processor_mode: 1
  - .args:
      - .actual_access:  write_only
        .address_space:  global
        .offset:         0
        .size:           8
        .value_kind:     global_buffer
      - .actual_access:  write_only
        .address_space:  global
        .offset:         8
        .size:           8
        .value_kind:     global_buffer
      - .actual_access:  read_only
        .address_space:  global
        .offset:         16
        .size:           8
        .value_kind:     global_buffer
      - .address_space:  global
        .offset:         24
        .size:           8
        .value_kind:     global_buffer
      - .offset:         32
        .size:           4
        .value_kind:     by_value
      - .offset:         40
        .size:           4
        .value_kind:     hidden_block_count_x
      - .offset:         44
        .size:           4
        .value_kind:     hidden_block_count_y
      - .offset:         48
        .size:           4
        .value_kind:     hidden_block_count_z
      - .offset:         52
        .size:           2
        .value_kind:     hidden_group_size_x
      - .offset:         54
        .size:           2
        .value_kind:     hidden_group_size_y
      - .offset:         56
        .size:           2
        .value_kind:     hidden_group_size_z
      - .offset:         58
        .size:           2
        .value_kind:     hidden_remainder_x
      - .offset:         60
        .size:           2
        .value_kind:     hidden_remainder_y
      - .offset:         62
        .size:           2
        .value_kind:     hidden_remainder_z
      - .offset:         80
        .size:           8
        .value_kind:     hidden_global_offset_x
      - .offset:         88
        .size:           8
        .value_kind:     hidden_global_offset_y
      - .offset:         96
        .size:           8
        .value_kind:     hidden_global_offset_z
      - .offset:         104
        .size:           2
        .value_kind:     hidden_grid_dims
    .group_segment_fixed_size: 512
    .kernarg_segment_align: 8
    .kernarg_segment_size: 296
    .language:       OpenCL C
    .language_version:
      - 2
      - 0
    .max_flat_workgroup_size: 1024
    .name:           _ZN4vllm35silu_and_mul_per_block_quant_kernelIfN3c1015Float8_e4m3fnuzELb1ELi128EEEvPT0_PfPKT_PKfi
    .private_segment_fixed_size: 0
    .sgpr_count:     18
    .sgpr_spill_count: 0
    .symbol:         _ZN4vllm35silu_and_mul_per_block_quant_kernelIfN3c1015Float8_e4m3fnuzELb1ELi128EEEvPT0_PfPKT_PKfi.kd
    .uniform_work_group_size: 1
    .uses_dynamic_stack: false
    .vgpr_count:     10
    .vgpr_spill_count: 0
    .wavefront_size: 32
    .workgroup_processor_mode: 1
  - .args:
      - .actual_access:  write_only
        .address_space:  global
        .offset:         0
        .size:           8
        .value_kind:     global_buffer
      - .actual_access:  write_only
        .address_space:  global
        .offset:         8
        .size:           8
        .value_kind:     global_buffer
      - .actual_access:  read_only
        .address_space:  global
        .offset:         16
        .size:           8
        .value_kind:     global_buffer
      - .address_space:  global
        .offset:         24
        .size:           8
        .value_kind:     global_buffer
      - .offset:         32
        .size:           4
        .value_kind:     by_value
      - .offset:         40
        .size:           4
        .value_kind:     hidden_block_count_x
      - .offset:         44
        .size:           4
        .value_kind:     hidden_block_count_y
      - .offset:         48
        .size:           4
        .value_kind:     hidden_block_count_z
      - .offset:         52
        .size:           2
        .value_kind:     hidden_group_size_x
      - .offset:         54
        .size:           2
        .value_kind:     hidden_group_size_y
      - .offset:         56
        .size:           2
        .value_kind:     hidden_group_size_z
      - .offset:         58
        .size:           2
        .value_kind:     hidden_remainder_x
      - .offset:         60
        .size:           2
        .value_kind:     hidden_remainder_y
      - .offset:         62
        .size:           2
        .value_kind:     hidden_remainder_z
      - .offset:         80
        .size:           8
        .value_kind:     hidden_global_offset_x
      - .offset:         88
        .size:           8
        .value_kind:     hidden_global_offset_y
      - .offset:         96
        .size:           8
        .value_kind:     hidden_global_offset_z
      - .offset:         104
        .size:           2
        .value_kind:     hidden_grid_dims
    .group_segment_fixed_size: 512
    .kernarg_segment_align: 8
    .kernarg_segment_size: 296
    .language:       OpenCL C
    .language_version:
      - 2
      - 0
    .max_flat_workgroup_size: 1024
    .name:           _ZN4vllm35silu_and_mul_per_block_quant_kernelIfN3c1015Float8_e4m3fnuzELb0ELi128EEEvPT0_PfPKT_PKfi
    .private_segment_fixed_size: 0
    .sgpr_count:     18
    .sgpr_spill_count: 0
    .symbol:         _ZN4vllm35silu_and_mul_per_block_quant_kernelIfN3c1015Float8_e4m3fnuzELb0ELi128EEEvPT0_PfPKT_PKfi.kd
    .uniform_work_group_size: 1
    .uses_dynamic_stack: false
    .vgpr_count:     10
    .vgpr_spill_count: 0
    .wavefront_size: 32
    .workgroup_processor_mode: 1
  - .args:
      - .actual_access:  write_only
        .address_space:  global
        .offset:         0
        .size:           8
        .value_kind:     global_buffer
      - .actual_access:  write_only
        .address_space:  global
        .offset:         8
        .size:           8
        .value_kind:     global_buffer
      - .actual_access:  read_only
        .address_space:  global
        .offset:         16
        .size:           8
        .value_kind:     global_buffer
      - .address_space:  global
        .offset:         24
        .size:           8
        .value_kind:     global_buffer
      - .offset:         32
        .size:           4
        .value_kind:     by_value
      - .offset:         40
        .size:           4
        .value_kind:     hidden_block_count_x
      - .offset:         44
        .size:           4
        .value_kind:     hidden_block_count_y
      - .offset:         48
        .size:           4
        .value_kind:     hidden_block_count_z
      - .offset:         52
        .size:           2
        .value_kind:     hidden_group_size_x
      - .offset:         54
        .size:           2
        .value_kind:     hidden_group_size_y
      - .offset:         56
        .size:           2
        .value_kind:     hidden_group_size_z
      - .offset:         58
        .size:           2
        .value_kind:     hidden_remainder_x
      - .offset:         60
        .size:           2
        .value_kind:     hidden_remainder_y
      - .offset:         62
        .size:           2
        .value_kind:     hidden_remainder_z
      - .offset:         80
        .size:           8
        .value_kind:     hidden_global_offset_x
      - .offset:         88
        .size:           8
        .value_kind:     hidden_global_offset_y
      - .offset:         96
        .size:           8
        .value_kind:     hidden_global_offset_z
      - .offset:         104
        .size:           2
        .value_kind:     hidden_grid_dims
    .group_segment_fixed_size: 256
    .kernarg_segment_align: 8
    .kernarg_segment_size: 296
    .language:       OpenCL C
    .language_version:
      - 2
      - 0
    .max_flat_workgroup_size: 1024
    .name:           _ZN4vllm35silu_and_mul_per_block_quant_kernelIfN3c1015Float8_e4m3fnuzELb1ELi64EEEvPT0_PfPKT_PKfi
    .private_segment_fixed_size: 0
    .sgpr_count:     18
    .sgpr_spill_count: 0
    .symbol:         _ZN4vllm35silu_and_mul_per_block_quant_kernelIfN3c1015Float8_e4m3fnuzELb1ELi64EEEvPT0_PfPKT_PKfi.kd
    .uniform_work_group_size: 1
    .uses_dynamic_stack: false
    .vgpr_count:     10
    .vgpr_spill_count: 0
    .wavefront_size: 32
    .workgroup_processor_mode: 1
  - .args:
      - .actual_access:  write_only
        .address_space:  global
        .offset:         0
        .size:           8
        .value_kind:     global_buffer
      - .actual_access:  write_only
        .address_space:  global
        .offset:         8
        .size:           8
        .value_kind:     global_buffer
      - .actual_access:  read_only
        .address_space:  global
        .offset:         16
        .size:           8
        .value_kind:     global_buffer
      - .address_space:  global
        .offset:         24
        .size:           8
        .value_kind:     global_buffer
      - .offset:         32
        .size:           4
        .value_kind:     by_value
      - .offset:         40
        .size:           4
        .value_kind:     hidden_block_count_x
      - .offset:         44
        .size:           4
        .value_kind:     hidden_block_count_y
      - .offset:         48
        .size:           4
        .value_kind:     hidden_block_count_z
      - .offset:         52
        .size:           2
        .value_kind:     hidden_group_size_x
      - .offset:         54
        .size:           2
        .value_kind:     hidden_group_size_y
      - .offset:         56
        .size:           2
        .value_kind:     hidden_group_size_z
      - .offset:         58
        .size:           2
        .value_kind:     hidden_remainder_x
      - .offset:         60
        .size:           2
        .value_kind:     hidden_remainder_y
      - .offset:         62
        .size:           2
        .value_kind:     hidden_remainder_z
      - .offset:         80
        .size:           8
        .value_kind:     hidden_global_offset_x
      - .offset:         88
        .size:           8
        .value_kind:     hidden_global_offset_y
      - .offset:         96
        .size:           8
        .value_kind:     hidden_global_offset_z
      - .offset:         104
        .size:           2
        .value_kind:     hidden_grid_dims
    .group_segment_fixed_size: 256
    .kernarg_segment_align: 8
    .kernarg_segment_size: 296
    .language:       OpenCL C
    .language_version:
      - 2
      - 0
    .max_flat_workgroup_size: 1024
    .name:           _ZN4vllm35silu_and_mul_per_block_quant_kernelIfN3c1015Float8_e4m3fnuzELb0ELi64EEEvPT0_PfPKT_PKfi
    .private_segment_fixed_size: 0
    .sgpr_count:     18
    .sgpr_spill_count: 0
    .symbol:         _ZN4vllm35silu_and_mul_per_block_quant_kernelIfN3c1015Float8_e4m3fnuzELb0ELi64EEEvPT0_PfPKT_PKfi.kd
    .uniform_work_group_size: 1
    .uses_dynamic_stack: false
    .vgpr_count:     10
    .vgpr_spill_count: 0
    .wavefront_size: 32
    .workgroup_processor_mode: 1
  - .args:
      - .actual_access:  write_only
        .address_space:  global
        .offset:         0
        .size:           8
        .value_kind:     global_buffer
      - .actual_access:  write_only
        .address_space:  global
        .offset:         8
        .size:           8
        .value_kind:     global_buffer
      - .actual_access:  read_only
        .address_space:  global
        .offset:         16
        .size:           8
        .value_kind:     global_buffer
      - .address_space:  global
        .offset:         24
        .size:           8
        .value_kind:     global_buffer
      - .offset:         32
        .size:           4
        .value_kind:     by_value
      - .offset:         40
        .size:           4
        .value_kind:     hidden_block_count_x
      - .offset:         44
        .size:           4
        .value_kind:     hidden_block_count_y
      - .offset:         48
        .size:           4
        .value_kind:     hidden_block_count_z
      - .offset:         52
        .size:           2
        .value_kind:     hidden_group_size_x
      - .offset:         54
        .size:           2
        .value_kind:     hidden_group_size_y
      - .offset:         56
        .size:           2
        .value_kind:     hidden_group_size_z
      - .offset:         58
        .size:           2
        .value_kind:     hidden_remainder_x
      - .offset:         60
        .size:           2
        .value_kind:     hidden_remainder_y
      - .offset:         62
        .size:           2
        .value_kind:     hidden_remainder_z
      - .offset:         80
        .size:           8
        .value_kind:     hidden_global_offset_x
      - .offset:         88
        .size:           8
        .value_kind:     hidden_global_offset_y
      - .offset:         96
        .size:           8
        .value_kind:     hidden_global_offset_z
      - .offset:         104
        .size:           2
        .value_kind:     hidden_grid_dims
    .group_segment_fixed_size: 512
    .kernarg_segment_align: 8
    .kernarg_segment_size: 296
    .language:       OpenCL C
    .language_version:
      - 2
      - 0
    .max_flat_workgroup_size: 1024
    .name:           _ZN4vllm35silu_and_mul_per_block_quant_kernelIfaLb1ELi128EEEvPT0_PfPKT_PKfi
    .private_segment_fixed_size: 0
    .sgpr_count:     18
    .sgpr_spill_count: 0
    .symbol:         _ZN4vllm35silu_and_mul_per_block_quant_kernelIfaLb1ELi128EEEvPT0_PfPKT_PKfi.kd
    .uniform_work_group_size: 1
    .uses_dynamic_stack: false
    .vgpr_count:     10
    .vgpr_spill_count: 0
    .wavefront_size: 32
    .workgroup_processor_mode: 1
  - .args:
      - .actual_access:  write_only
        .address_space:  global
        .offset:         0
        .size:           8
        .value_kind:     global_buffer
      - .actual_access:  write_only
        .address_space:  global
        .offset:         8
        .size:           8
        .value_kind:     global_buffer
      - .actual_access:  read_only
        .address_space:  global
        .offset:         16
        .size:           8
        .value_kind:     global_buffer
      - .address_space:  global
        .offset:         24
        .size:           8
        .value_kind:     global_buffer
      - .offset:         32
        .size:           4
        .value_kind:     by_value
      - .offset:         40
        .size:           4
        .value_kind:     hidden_block_count_x
      - .offset:         44
        .size:           4
        .value_kind:     hidden_block_count_y
      - .offset:         48
        .size:           4
        .value_kind:     hidden_block_count_z
      - .offset:         52
        .size:           2
        .value_kind:     hidden_group_size_x
      - .offset:         54
        .size:           2
        .value_kind:     hidden_group_size_y
      - .offset:         56
        .size:           2
        .value_kind:     hidden_group_size_z
      - .offset:         58
        .size:           2
        .value_kind:     hidden_remainder_x
      - .offset:         60
        .size:           2
        .value_kind:     hidden_remainder_y
      - .offset:         62
        .size:           2
        .value_kind:     hidden_remainder_z
      - .offset:         80
        .size:           8
        .value_kind:     hidden_global_offset_x
      - .offset:         88
        .size:           8
        .value_kind:     hidden_global_offset_y
      - .offset:         96
        .size:           8
        .value_kind:     hidden_global_offset_z
      - .offset:         104
        .size:           2
        .value_kind:     hidden_grid_dims
    .group_segment_fixed_size: 512
    .kernarg_segment_align: 8
    .kernarg_segment_size: 296
    .language:       OpenCL C
    .language_version:
      - 2
      - 0
    .max_flat_workgroup_size: 1024
    .name:           _ZN4vllm35silu_and_mul_per_block_quant_kernelIfaLb0ELi128EEEvPT0_PfPKT_PKfi
    .private_segment_fixed_size: 0
    .sgpr_count:     18
    .sgpr_spill_count: 0
    .symbol:         _ZN4vllm35silu_and_mul_per_block_quant_kernelIfaLb0ELi128EEEvPT0_PfPKT_PKfi.kd
    .uniform_work_group_size: 1
    .uses_dynamic_stack: false
    .vgpr_count:     10
    .vgpr_spill_count: 0
    .wavefront_size: 32
    .workgroup_processor_mode: 1
  - .args:
      - .actual_access:  write_only
        .address_space:  global
        .offset:         0
        .size:           8
        .value_kind:     global_buffer
      - .actual_access:  write_only
        .address_space:  global
        .offset:         8
        .size:           8
        .value_kind:     global_buffer
      - .actual_access:  read_only
        .address_space:  global
        .offset:         16
        .size:           8
        .value_kind:     global_buffer
      - .address_space:  global
        .offset:         24
        .size:           8
        .value_kind:     global_buffer
      - .offset:         32
        .size:           4
        .value_kind:     by_value
      - .offset:         40
        .size:           4
        .value_kind:     hidden_block_count_x
      - .offset:         44
        .size:           4
        .value_kind:     hidden_block_count_y
      - .offset:         48
        .size:           4
        .value_kind:     hidden_block_count_z
      - .offset:         52
        .size:           2
        .value_kind:     hidden_group_size_x
      - .offset:         54
        .size:           2
        .value_kind:     hidden_group_size_y
      - .offset:         56
        .size:           2
        .value_kind:     hidden_group_size_z
      - .offset:         58
        .size:           2
        .value_kind:     hidden_remainder_x
      - .offset:         60
        .size:           2
        .value_kind:     hidden_remainder_y
      - .offset:         62
        .size:           2
        .value_kind:     hidden_remainder_z
      - .offset:         80
        .size:           8
        .value_kind:     hidden_global_offset_x
      - .offset:         88
        .size:           8
        .value_kind:     hidden_global_offset_y
      - .offset:         96
        .size:           8
        .value_kind:     hidden_global_offset_z
      - .offset:         104
        .size:           2
        .value_kind:     hidden_grid_dims
    .group_segment_fixed_size: 256
    .kernarg_segment_align: 8
    .kernarg_segment_size: 296
    .language:       OpenCL C
    .language_version:
      - 2
      - 0
    .max_flat_workgroup_size: 1024
    .name:           _ZN4vllm35silu_and_mul_per_block_quant_kernelIfaLb1ELi64EEEvPT0_PfPKT_PKfi
    .private_segment_fixed_size: 0
    .sgpr_count:     18
    .sgpr_spill_count: 0
    .symbol:         _ZN4vllm35silu_and_mul_per_block_quant_kernelIfaLb1ELi64EEEvPT0_PfPKT_PKfi.kd
    .uniform_work_group_size: 1
    .uses_dynamic_stack: false
    .vgpr_count:     10
    .vgpr_spill_count: 0
    .wavefront_size: 32
    .workgroup_processor_mode: 1
  - .args:
      - .actual_access:  write_only
        .address_space:  global
        .offset:         0
        .size:           8
        .value_kind:     global_buffer
      - .actual_access:  write_only
        .address_space:  global
        .offset:         8
        .size:           8
        .value_kind:     global_buffer
      - .actual_access:  read_only
        .address_space:  global
        .offset:         16
        .size:           8
        .value_kind:     global_buffer
      - .address_space:  global
        .offset:         24
        .size:           8
        .value_kind:     global_buffer
      - .offset:         32
        .size:           4
        .value_kind:     by_value
      - .offset:         40
        .size:           4
        .value_kind:     hidden_block_count_x
      - .offset:         44
        .size:           4
        .value_kind:     hidden_block_count_y
      - .offset:         48
        .size:           4
        .value_kind:     hidden_block_count_z
      - .offset:         52
        .size:           2
        .value_kind:     hidden_group_size_x
      - .offset:         54
        .size:           2
        .value_kind:     hidden_group_size_y
      - .offset:         56
        .size:           2
        .value_kind:     hidden_group_size_z
      - .offset:         58
        .size:           2
        .value_kind:     hidden_remainder_x
      - .offset:         60
        .size:           2
        .value_kind:     hidden_remainder_y
      - .offset:         62
        .size:           2
        .value_kind:     hidden_remainder_z
      - .offset:         80
        .size:           8
        .value_kind:     hidden_global_offset_x
      - .offset:         88
        .size:           8
        .value_kind:     hidden_global_offset_y
      - .offset:         96
        .size:           8
        .value_kind:     hidden_global_offset_z
      - .offset:         104
        .size:           2
        .value_kind:     hidden_grid_dims
    .group_segment_fixed_size: 256
    .kernarg_segment_align: 8
    .kernarg_segment_size: 296
    .language:       OpenCL C
    .language_version:
      - 2
      - 0
    .max_flat_workgroup_size: 1024
    .name:           _ZN4vllm35silu_and_mul_per_block_quant_kernelIfaLb0ELi64EEEvPT0_PfPKT_PKfi
    .private_segment_fixed_size: 0
    .sgpr_count:     18
    .sgpr_spill_count: 0
    .symbol:         _ZN4vllm35silu_and_mul_per_block_quant_kernelIfaLb0ELi64EEEvPT0_PfPKT_PKfi.kd
    .uniform_work_group_size: 1
    .uses_dynamic_stack: false
    .vgpr_count:     10
    .vgpr_spill_count: 0
    .wavefront_size: 32
    .workgroup_processor_mode: 1
  - .args:
      - .actual_access:  write_only
        .address_space:  global
        .offset:         0
        .size:           8
        .value_kind:     global_buffer
      - .actual_access:  write_only
        .address_space:  global
        .offset:         8
        .size:           8
        .value_kind:     global_buffer
      - .actual_access:  read_only
        .address_space:  global
        .offset:         16
        .size:           8
        .value_kind:     global_buffer
      - .address_space:  global
        .offset:         24
        .size:           8
        .value_kind:     global_buffer
      - .offset:         32
        .size:           4
        .value_kind:     by_value
      - .offset:         40
        .size:           4
        .value_kind:     hidden_block_count_x
      - .offset:         44
        .size:           4
        .value_kind:     hidden_block_count_y
      - .offset:         48
        .size:           4
        .value_kind:     hidden_block_count_z
      - .offset:         52
        .size:           2
        .value_kind:     hidden_group_size_x
      - .offset:         54
        .size:           2
        .value_kind:     hidden_group_size_y
      - .offset:         56
        .size:           2
        .value_kind:     hidden_group_size_z
      - .offset:         58
        .size:           2
        .value_kind:     hidden_remainder_x
      - .offset:         60
        .size:           2
        .value_kind:     hidden_remainder_y
      - .offset:         62
        .size:           2
        .value_kind:     hidden_remainder_z
      - .offset:         80
        .size:           8
        .value_kind:     hidden_global_offset_x
      - .offset:         88
        .size:           8
        .value_kind:     hidden_global_offset_y
      - .offset:         96
        .size:           8
        .value_kind:     hidden_global_offset_z
      - .offset:         104
        .size:           2
        .value_kind:     hidden_grid_dims
    .group_segment_fixed_size: 512
    .kernarg_segment_align: 8
    .kernarg_segment_size: 296
    .language:       OpenCL C
    .language_version:
      - 2
      - 0
    .max_flat_workgroup_size: 1024
    .name:           _ZN4vllm35silu_and_mul_per_block_quant_kernelIN3c104HalfENS1_13Float8_e4m3fnELb1ELi128EEEvPT0_PfPKT_PKfi
    .private_segment_fixed_size: 0
    .sgpr_count:     18
    .sgpr_spill_count: 0
    .symbol:         _ZN4vllm35silu_and_mul_per_block_quant_kernelIN3c104HalfENS1_13Float8_e4m3fnELb1ELi128EEEvPT0_PfPKT_PKfi.kd
    .uniform_work_group_size: 1
    .uses_dynamic_stack: false
    .vgpr_count:     9
    .vgpr_spill_count: 0
    .wavefront_size: 32
    .workgroup_processor_mode: 1
  - .args:
      - .actual_access:  write_only
        .address_space:  global
        .offset:         0
        .size:           8
        .value_kind:     global_buffer
      - .actual_access:  write_only
        .address_space:  global
        .offset:         8
        .size:           8
        .value_kind:     global_buffer
      - .actual_access:  read_only
        .address_space:  global
        .offset:         16
        .size:           8
        .value_kind:     global_buffer
      - .address_space:  global
        .offset:         24
        .size:           8
        .value_kind:     global_buffer
      - .offset:         32
        .size:           4
        .value_kind:     by_value
      - .offset:         40
        .size:           4
        .value_kind:     hidden_block_count_x
      - .offset:         44
        .size:           4
        .value_kind:     hidden_block_count_y
      - .offset:         48
        .size:           4
        .value_kind:     hidden_block_count_z
      - .offset:         52
        .size:           2
        .value_kind:     hidden_group_size_x
      - .offset:         54
        .size:           2
        .value_kind:     hidden_group_size_y
      - .offset:         56
        .size:           2
        .value_kind:     hidden_group_size_z
      - .offset:         58
        .size:           2
        .value_kind:     hidden_remainder_x
      - .offset:         60
        .size:           2
        .value_kind:     hidden_remainder_y
      - .offset:         62
        .size:           2
        .value_kind:     hidden_remainder_z
      - .offset:         80
        .size:           8
        .value_kind:     hidden_global_offset_x
      - .offset:         88
        .size:           8
        .value_kind:     hidden_global_offset_y
      - .offset:         96
        .size:           8
        .value_kind:     hidden_global_offset_z
      - .offset:         104
        .size:           2
        .value_kind:     hidden_grid_dims
    .group_segment_fixed_size: 512
    .kernarg_segment_align: 8
    .kernarg_segment_size: 296
    .language:       OpenCL C
    .language_version:
      - 2
      - 0
    .max_flat_workgroup_size: 1024
    .name:           _ZN4vllm35silu_and_mul_per_block_quant_kernelIN3c104HalfENS1_13Float8_e4m3fnELb0ELi128EEEvPT0_PfPKT_PKfi
    .private_segment_fixed_size: 0
    .sgpr_count:     18
    .sgpr_spill_count: 0
    .symbol:         _ZN4vllm35silu_and_mul_per_block_quant_kernelIN3c104HalfENS1_13Float8_e4m3fnELb0ELi128EEEvPT0_PfPKT_PKfi.kd
    .uniform_work_group_size: 1
    .uses_dynamic_stack: false
    .vgpr_count:     9
    .vgpr_spill_count: 0
    .wavefront_size: 32
    .workgroup_processor_mode: 1
  - .args:
      - .actual_access:  write_only
        .address_space:  global
        .offset:         0
        .size:           8
        .value_kind:     global_buffer
      - .actual_access:  write_only
        .address_space:  global
        .offset:         8
        .size:           8
        .value_kind:     global_buffer
      - .actual_access:  read_only
        .address_space:  global
        .offset:         16
        .size:           8
        .value_kind:     global_buffer
      - .address_space:  global
        .offset:         24
        .size:           8
        .value_kind:     global_buffer
      - .offset:         32
        .size:           4
        .value_kind:     by_value
      - .offset:         40
        .size:           4
        .value_kind:     hidden_block_count_x
      - .offset:         44
        .size:           4
        .value_kind:     hidden_block_count_y
      - .offset:         48
        .size:           4
        .value_kind:     hidden_block_count_z
      - .offset:         52
        .size:           2
        .value_kind:     hidden_group_size_x
      - .offset:         54
        .size:           2
        .value_kind:     hidden_group_size_y
      - .offset:         56
        .size:           2
        .value_kind:     hidden_group_size_z
      - .offset:         58
        .size:           2
        .value_kind:     hidden_remainder_x
      - .offset:         60
        .size:           2
        .value_kind:     hidden_remainder_y
      - .offset:         62
        .size:           2
        .value_kind:     hidden_remainder_z
      - .offset:         80
        .size:           8
        .value_kind:     hidden_global_offset_x
      - .offset:         88
        .size:           8
        .value_kind:     hidden_global_offset_y
      - .offset:         96
        .size:           8
        .value_kind:     hidden_global_offset_z
      - .offset:         104
        .size:           2
        .value_kind:     hidden_grid_dims
    .group_segment_fixed_size: 256
    .kernarg_segment_align: 8
    .kernarg_segment_size: 296
    .language:       OpenCL C
    .language_version:
      - 2
      - 0
    .max_flat_workgroup_size: 1024
    .name:           _ZN4vllm35silu_and_mul_per_block_quant_kernelIN3c104HalfENS1_13Float8_e4m3fnELb1ELi64EEEvPT0_PfPKT_PKfi
    .private_segment_fixed_size: 0
    .sgpr_count:     18
    .sgpr_spill_count: 0
    .symbol:         _ZN4vllm35silu_and_mul_per_block_quant_kernelIN3c104HalfENS1_13Float8_e4m3fnELb1ELi64EEEvPT0_PfPKT_PKfi.kd
    .uniform_work_group_size: 1
    .uses_dynamic_stack: false
    .vgpr_count:     9
    .vgpr_spill_count: 0
    .wavefront_size: 32
    .workgroup_processor_mode: 1
  - .args:
      - .actual_access:  write_only
        .address_space:  global
        .offset:         0
        .size:           8
        .value_kind:     global_buffer
      - .actual_access:  write_only
        .address_space:  global
        .offset:         8
        .size:           8
        .value_kind:     global_buffer
      - .actual_access:  read_only
        .address_space:  global
        .offset:         16
        .size:           8
        .value_kind:     global_buffer
      - .address_space:  global
        .offset:         24
        .size:           8
        .value_kind:     global_buffer
      - .offset:         32
        .size:           4
        .value_kind:     by_value
      - .offset:         40
        .size:           4
        .value_kind:     hidden_block_count_x
      - .offset:         44
        .size:           4
        .value_kind:     hidden_block_count_y
      - .offset:         48
        .size:           4
        .value_kind:     hidden_block_count_z
      - .offset:         52
        .size:           2
        .value_kind:     hidden_group_size_x
      - .offset:         54
        .size:           2
        .value_kind:     hidden_group_size_y
      - .offset:         56
        .size:           2
        .value_kind:     hidden_group_size_z
      - .offset:         58
        .size:           2
        .value_kind:     hidden_remainder_x
      - .offset:         60
        .size:           2
        .value_kind:     hidden_remainder_y
      - .offset:         62
        .size:           2
        .value_kind:     hidden_remainder_z
      - .offset:         80
        .size:           8
        .value_kind:     hidden_global_offset_x
      - .offset:         88
        .size:           8
        .value_kind:     hidden_global_offset_y
      - .offset:         96
        .size:           8
        .value_kind:     hidden_global_offset_z
      - .offset:         104
        .size:           2
        .value_kind:     hidden_grid_dims
    .group_segment_fixed_size: 256
    .kernarg_segment_align: 8
    .kernarg_segment_size: 296
    .language:       OpenCL C
    .language_version:
      - 2
      - 0
    .max_flat_workgroup_size: 1024
    .name:           _ZN4vllm35silu_and_mul_per_block_quant_kernelIN3c104HalfENS1_13Float8_e4m3fnELb0ELi64EEEvPT0_PfPKT_PKfi
    .private_segment_fixed_size: 0
    .sgpr_count:     18
    .sgpr_spill_count: 0
    .symbol:         _ZN4vllm35silu_and_mul_per_block_quant_kernelIN3c104HalfENS1_13Float8_e4m3fnELb0ELi64EEEvPT0_PfPKT_PKfi.kd
    .uniform_work_group_size: 1
    .uses_dynamic_stack: false
    .vgpr_count:     9
    .vgpr_spill_count: 0
    .wavefront_size: 32
    .workgroup_processor_mode: 1
  - .args:
      - .actual_access:  write_only
        .address_space:  global
        .offset:         0
        .size:           8
        .value_kind:     global_buffer
      - .actual_access:  write_only
        .address_space:  global
        .offset:         8
        .size:           8
        .value_kind:     global_buffer
      - .actual_access:  read_only
        .address_space:  global
        .offset:         16
        .size:           8
        .value_kind:     global_buffer
      - .address_space:  global
        .offset:         24
        .size:           8
        .value_kind:     global_buffer
      - .offset:         32
        .size:           4
        .value_kind:     by_value
      - .offset:         40
        .size:           4
        .value_kind:     hidden_block_count_x
      - .offset:         44
        .size:           4
        .value_kind:     hidden_block_count_y
      - .offset:         48
        .size:           4
        .value_kind:     hidden_block_count_z
      - .offset:         52
        .size:           2
        .value_kind:     hidden_group_size_x
      - .offset:         54
        .size:           2
        .value_kind:     hidden_group_size_y
      - .offset:         56
        .size:           2
        .value_kind:     hidden_group_size_z
      - .offset:         58
        .size:           2
        .value_kind:     hidden_remainder_x
      - .offset:         60
        .size:           2
        .value_kind:     hidden_remainder_y
      - .offset:         62
        .size:           2
        .value_kind:     hidden_remainder_z
      - .offset:         80
        .size:           8
        .value_kind:     hidden_global_offset_x
      - .offset:         88
        .size:           8
        .value_kind:     hidden_global_offset_y
      - .offset:         96
        .size:           8
        .value_kind:     hidden_global_offset_z
      - .offset:         104
        .size:           2
        .value_kind:     hidden_grid_dims
    .group_segment_fixed_size: 512
    .kernarg_segment_align: 8
    .kernarg_segment_size: 296
    .language:       OpenCL C
    .language_version:
      - 2
      - 0
    .max_flat_workgroup_size: 1024
    .name:           _ZN4vllm35silu_and_mul_per_block_quant_kernelIN3c104HalfENS1_15Float8_e4m3fnuzELb1ELi128EEEvPT0_PfPKT_PKfi
    .private_segment_fixed_size: 0
    .sgpr_count:     18
    .sgpr_spill_count: 0
    .symbol:         _ZN4vllm35silu_and_mul_per_block_quant_kernelIN3c104HalfENS1_15Float8_e4m3fnuzELb1ELi128EEEvPT0_PfPKT_PKfi.kd
    .uniform_work_group_size: 1
    .uses_dynamic_stack: false
    .vgpr_count:     9
    .vgpr_spill_count: 0
    .wavefront_size: 32
    .workgroup_processor_mode: 1
  - .args:
      - .actual_access:  write_only
        .address_space:  global
        .offset:         0
        .size:           8
        .value_kind:     global_buffer
      - .actual_access:  write_only
        .address_space:  global
        .offset:         8
        .size:           8
        .value_kind:     global_buffer
      - .actual_access:  read_only
        .address_space:  global
        .offset:         16
        .size:           8
        .value_kind:     global_buffer
      - .address_space:  global
        .offset:         24
        .size:           8
        .value_kind:     global_buffer
      - .offset:         32
        .size:           4
        .value_kind:     by_value
      - .offset:         40
        .size:           4
        .value_kind:     hidden_block_count_x
      - .offset:         44
        .size:           4
        .value_kind:     hidden_block_count_y
      - .offset:         48
        .size:           4
        .value_kind:     hidden_block_count_z
      - .offset:         52
        .size:           2
        .value_kind:     hidden_group_size_x
      - .offset:         54
        .size:           2
        .value_kind:     hidden_group_size_y
      - .offset:         56
        .size:           2
        .value_kind:     hidden_group_size_z
      - .offset:         58
        .size:           2
        .value_kind:     hidden_remainder_x
      - .offset:         60
        .size:           2
        .value_kind:     hidden_remainder_y
      - .offset:         62
        .size:           2
        .value_kind:     hidden_remainder_z
      - .offset:         80
        .size:           8
        .value_kind:     hidden_global_offset_x
      - .offset:         88
        .size:           8
        .value_kind:     hidden_global_offset_y
      - .offset:         96
        .size:           8
        .value_kind:     hidden_global_offset_z
      - .offset:         104
        .size:           2
        .value_kind:     hidden_grid_dims
    .group_segment_fixed_size: 512
    .kernarg_segment_align: 8
    .kernarg_segment_size: 296
    .language:       OpenCL C
    .language_version:
      - 2
      - 0
    .max_flat_workgroup_size: 1024
    .name:           _ZN4vllm35silu_and_mul_per_block_quant_kernelIN3c104HalfENS1_15Float8_e4m3fnuzELb0ELi128EEEvPT0_PfPKT_PKfi
    .private_segment_fixed_size: 0
    .sgpr_count:     18
    .sgpr_spill_count: 0
    .symbol:         _ZN4vllm35silu_and_mul_per_block_quant_kernelIN3c104HalfENS1_15Float8_e4m3fnuzELb0ELi128EEEvPT0_PfPKT_PKfi.kd
    .uniform_work_group_size: 1
    .uses_dynamic_stack: false
    .vgpr_count:     9
    .vgpr_spill_count: 0
    .wavefront_size: 32
    .workgroup_processor_mode: 1
  - .args:
      - .actual_access:  write_only
        .address_space:  global
        .offset:         0
        .size:           8
        .value_kind:     global_buffer
      - .actual_access:  write_only
        .address_space:  global
        .offset:         8
        .size:           8
        .value_kind:     global_buffer
      - .actual_access:  read_only
        .address_space:  global
        .offset:         16
        .size:           8
        .value_kind:     global_buffer
      - .address_space:  global
        .offset:         24
        .size:           8
        .value_kind:     global_buffer
      - .offset:         32
        .size:           4
        .value_kind:     by_value
      - .offset:         40
        .size:           4
        .value_kind:     hidden_block_count_x
      - .offset:         44
        .size:           4
        .value_kind:     hidden_block_count_y
      - .offset:         48
        .size:           4
        .value_kind:     hidden_block_count_z
      - .offset:         52
        .size:           2
        .value_kind:     hidden_group_size_x
      - .offset:         54
        .size:           2
        .value_kind:     hidden_group_size_y
      - .offset:         56
        .size:           2
        .value_kind:     hidden_group_size_z
      - .offset:         58
        .size:           2
        .value_kind:     hidden_remainder_x
      - .offset:         60
        .size:           2
        .value_kind:     hidden_remainder_y
      - .offset:         62
        .size:           2
        .value_kind:     hidden_remainder_z
      - .offset:         80
        .size:           8
        .value_kind:     hidden_global_offset_x
      - .offset:         88
        .size:           8
        .value_kind:     hidden_global_offset_y
      - .offset:         96
        .size:           8
        .value_kind:     hidden_global_offset_z
      - .offset:         104
        .size:           2
        .value_kind:     hidden_grid_dims
    .group_segment_fixed_size: 256
    .kernarg_segment_align: 8
    .kernarg_segment_size: 296
    .language:       OpenCL C
    .language_version:
      - 2
      - 0
    .max_flat_workgroup_size: 1024
    .name:           _ZN4vllm35silu_and_mul_per_block_quant_kernelIN3c104HalfENS1_15Float8_e4m3fnuzELb1ELi64EEEvPT0_PfPKT_PKfi
    .private_segment_fixed_size: 0
    .sgpr_count:     18
    .sgpr_spill_count: 0
    .symbol:         _ZN4vllm35silu_and_mul_per_block_quant_kernelIN3c104HalfENS1_15Float8_e4m3fnuzELb1ELi64EEEvPT0_PfPKT_PKfi.kd
    .uniform_work_group_size: 1
    .uses_dynamic_stack: false
    .vgpr_count:     9
    .vgpr_spill_count: 0
    .wavefront_size: 32
    .workgroup_processor_mode: 1
  - .args:
      - .actual_access:  write_only
        .address_space:  global
        .offset:         0
        .size:           8
        .value_kind:     global_buffer
      - .actual_access:  write_only
        .address_space:  global
        .offset:         8
        .size:           8
        .value_kind:     global_buffer
      - .actual_access:  read_only
        .address_space:  global
        .offset:         16
        .size:           8
        .value_kind:     global_buffer
      - .address_space:  global
        .offset:         24
        .size:           8
        .value_kind:     global_buffer
      - .offset:         32
        .size:           4
        .value_kind:     by_value
      - .offset:         40
        .size:           4
        .value_kind:     hidden_block_count_x
      - .offset:         44
        .size:           4
        .value_kind:     hidden_block_count_y
      - .offset:         48
        .size:           4
        .value_kind:     hidden_block_count_z
      - .offset:         52
        .size:           2
        .value_kind:     hidden_group_size_x
      - .offset:         54
        .size:           2
        .value_kind:     hidden_group_size_y
      - .offset:         56
        .size:           2
        .value_kind:     hidden_group_size_z
      - .offset:         58
        .size:           2
        .value_kind:     hidden_remainder_x
      - .offset:         60
        .size:           2
        .value_kind:     hidden_remainder_y
      - .offset:         62
        .size:           2
        .value_kind:     hidden_remainder_z
      - .offset:         80
        .size:           8
        .value_kind:     hidden_global_offset_x
      - .offset:         88
        .size:           8
        .value_kind:     hidden_global_offset_y
      - .offset:         96
        .size:           8
        .value_kind:     hidden_global_offset_z
      - .offset:         104
        .size:           2
        .value_kind:     hidden_grid_dims
    .group_segment_fixed_size: 256
    .kernarg_segment_align: 8
    .kernarg_segment_size: 296
    .language:       OpenCL C
    .language_version:
      - 2
      - 0
    .max_flat_workgroup_size: 1024
    .name:           _ZN4vllm35silu_and_mul_per_block_quant_kernelIN3c104HalfENS1_15Float8_e4m3fnuzELb0ELi64EEEvPT0_PfPKT_PKfi
    .private_segment_fixed_size: 0
    .sgpr_count:     18
    .sgpr_spill_count: 0
    .symbol:         _ZN4vllm35silu_and_mul_per_block_quant_kernelIN3c104HalfENS1_15Float8_e4m3fnuzELb0ELi64EEEvPT0_PfPKT_PKfi.kd
    .uniform_work_group_size: 1
    .uses_dynamic_stack: false
    .vgpr_count:     9
    .vgpr_spill_count: 0
    .wavefront_size: 32
    .workgroup_processor_mode: 1
  - .args:
      - .actual_access:  write_only
        .address_space:  global
        .offset:         0
        .size:           8
        .value_kind:     global_buffer
      - .actual_access:  write_only
        .address_space:  global
        .offset:         8
        .size:           8
        .value_kind:     global_buffer
      - .actual_access:  read_only
        .address_space:  global
        .offset:         16
        .size:           8
        .value_kind:     global_buffer
      - .address_space:  global
        .offset:         24
        .size:           8
        .value_kind:     global_buffer
      - .offset:         32
        .size:           4
        .value_kind:     by_value
      - .offset:         40
        .size:           4
        .value_kind:     hidden_block_count_x
      - .offset:         44
        .size:           4
        .value_kind:     hidden_block_count_y
      - .offset:         48
        .size:           4
        .value_kind:     hidden_block_count_z
      - .offset:         52
        .size:           2
        .value_kind:     hidden_group_size_x
      - .offset:         54
        .size:           2
        .value_kind:     hidden_group_size_y
      - .offset:         56
        .size:           2
        .value_kind:     hidden_group_size_z
      - .offset:         58
        .size:           2
        .value_kind:     hidden_remainder_x
      - .offset:         60
        .size:           2
        .value_kind:     hidden_remainder_y
      - .offset:         62
        .size:           2
        .value_kind:     hidden_remainder_z
      - .offset:         80
        .size:           8
        .value_kind:     hidden_global_offset_x
      - .offset:         88
        .size:           8
        .value_kind:     hidden_global_offset_y
      - .offset:         96
        .size:           8
        .value_kind:     hidden_global_offset_z
      - .offset:         104
        .size:           2
        .value_kind:     hidden_grid_dims
    .group_segment_fixed_size: 512
    .kernarg_segment_align: 8
    .kernarg_segment_size: 296
    .language:       OpenCL C
    .language_version:
      - 2
      - 0
    .max_flat_workgroup_size: 1024
    .name:           _ZN4vllm35silu_and_mul_per_block_quant_kernelIN3c104HalfEaLb1ELi128EEEvPT0_PfPKT_PKfi
    .private_segment_fixed_size: 0
    .sgpr_count:     18
    .sgpr_spill_count: 0
    .symbol:         _ZN4vllm35silu_and_mul_per_block_quant_kernelIN3c104HalfEaLb1ELi128EEEvPT0_PfPKT_PKfi.kd
    .uniform_work_group_size: 1
    .uses_dynamic_stack: false
    .vgpr_count:     9
    .vgpr_spill_count: 0
    .wavefront_size: 32
    .workgroup_processor_mode: 1
  - .args:
      - .actual_access:  write_only
        .address_space:  global
        .offset:         0
        .size:           8
        .value_kind:     global_buffer
      - .actual_access:  write_only
        .address_space:  global
        .offset:         8
        .size:           8
        .value_kind:     global_buffer
      - .actual_access:  read_only
        .address_space:  global
        .offset:         16
        .size:           8
        .value_kind:     global_buffer
      - .address_space:  global
        .offset:         24
        .size:           8
        .value_kind:     global_buffer
      - .offset:         32
        .size:           4
        .value_kind:     by_value
      - .offset:         40
        .size:           4
        .value_kind:     hidden_block_count_x
      - .offset:         44
        .size:           4
        .value_kind:     hidden_block_count_y
      - .offset:         48
        .size:           4
        .value_kind:     hidden_block_count_z
      - .offset:         52
        .size:           2
        .value_kind:     hidden_group_size_x
      - .offset:         54
        .size:           2
        .value_kind:     hidden_group_size_y
      - .offset:         56
        .size:           2
        .value_kind:     hidden_group_size_z
      - .offset:         58
        .size:           2
        .value_kind:     hidden_remainder_x
      - .offset:         60
        .size:           2
        .value_kind:     hidden_remainder_y
      - .offset:         62
        .size:           2
        .value_kind:     hidden_remainder_z
      - .offset:         80
        .size:           8
        .value_kind:     hidden_global_offset_x
      - .offset:         88
        .size:           8
        .value_kind:     hidden_global_offset_y
      - .offset:         96
        .size:           8
        .value_kind:     hidden_global_offset_z
      - .offset:         104
        .size:           2
        .value_kind:     hidden_grid_dims
    .group_segment_fixed_size: 512
    .kernarg_segment_align: 8
    .kernarg_segment_size: 296
    .language:       OpenCL C
    .language_version:
      - 2
      - 0
    .max_flat_workgroup_size: 1024
    .name:           _ZN4vllm35silu_and_mul_per_block_quant_kernelIN3c104HalfEaLb0ELi128EEEvPT0_PfPKT_PKfi
    .private_segment_fixed_size: 0
    .sgpr_count:     18
    .sgpr_spill_count: 0
    .symbol:         _ZN4vllm35silu_and_mul_per_block_quant_kernelIN3c104HalfEaLb0ELi128EEEvPT0_PfPKT_PKfi.kd
    .uniform_work_group_size: 1
    .uses_dynamic_stack: false
    .vgpr_count:     9
    .vgpr_spill_count: 0
    .wavefront_size: 32
    .workgroup_processor_mode: 1
  - .args:
      - .actual_access:  write_only
        .address_space:  global
        .offset:         0
        .size:           8
        .value_kind:     global_buffer
      - .actual_access:  write_only
        .address_space:  global
        .offset:         8
        .size:           8
        .value_kind:     global_buffer
      - .actual_access:  read_only
        .address_space:  global
        .offset:         16
        .size:           8
        .value_kind:     global_buffer
      - .address_space:  global
        .offset:         24
        .size:           8
        .value_kind:     global_buffer
      - .offset:         32
        .size:           4
        .value_kind:     by_value
      - .offset:         40
        .size:           4
        .value_kind:     hidden_block_count_x
      - .offset:         44
        .size:           4
        .value_kind:     hidden_block_count_y
      - .offset:         48
        .size:           4
        .value_kind:     hidden_block_count_z
      - .offset:         52
        .size:           2
        .value_kind:     hidden_group_size_x
      - .offset:         54
        .size:           2
        .value_kind:     hidden_group_size_y
      - .offset:         56
        .size:           2
        .value_kind:     hidden_group_size_z
      - .offset:         58
        .size:           2
        .value_kind:     hidden_remainder_x
      - .offset:         60
        .size:           2
        .value_kind:     hidden_remainder_y
      - .offset:         62
        .size:           2
        .value_kind:     hidden_remainder_z
      - .offset:         80
        .size:           8
        .value_kind:     hidden_global_offset_x
      - .offset:         88
        .size:           8
        .value_kind:     hidden_global_offset_y
      - .offset:         96
        .size:           8
        .value_kind:     hidden_global_offset_z
      - .offset:         104
        .size:           2
        .value_kind:     hidden_grid_dims
    .group_segment_fixed_size: 256
    .kernarg_segment_align: 8
    .kernarg_segment_size: 296
    .language:       OpenCL C
    .language_version:
      - 2
      - 0
    .max_flat_workgroup_size: 1024
    .name:           _ZN4vllm35silu_and_mul_per_block_quant_kernelIN3c104HalfEaLb1ELi64EEEvPT0_PfPKT_PKfi
    .private_segment_fixed_size: 0
    .sgpr_count:     18
    .sgpr_spill_count: 0
    .symbol:         _ZN4vllm35silu_and_mul_per_block_quant_kernelIN3c104HalfEaLb1ELi64EEEvPT0_PfPKT_PKfi.kd
    .uniform_work_group_size: 1
    .uses_dynamic_stack: false
    .vgpr_count:     9
    .vgpr_spill_count: 0
    .wavefront_size: 32
    .workgroup_processor_mode: 1
  - .args:
      - .actual_access:  write_only
        .address_space:  global
        .offset:         0
        .size:           8
        .value_kind:     global_buffer
      - .actual_access:  write_only
        .address_space:  global
        .offset:         8
        .size:           8
        .value_kind:     global_buffer
      - .actual_access:  read_only
        .address_space:  global
        .offset:         16
        .size:           8
        .value_kind:     global_buffer
      - .address_space:  global
        .offset:         24
        .size:           8
        .value_kind:     global_buffer
      - .offset:         32
        .size:           4
        .value_kind:     by_value
      - .offset:         40
        .size:           4
        .value_kind:     hidden_block_count_x
      - .offset:         44
        .size:           4
        .value_kind:     hidden_block_count_y
      - .offset:         48
        .size:           4
        .value_kind:     hidden_block_count_z
      - .offset:         52
        .size:           2
        .value_kind:     hidden_group_size_x
      - .offset:         54
        .size:           2
        .value_kind:     hidden_group_size_y
      - .offset:         56
        .size:           2
        .value_kind:     hidden_group_size_z
      - .offset:         58
        .size:           2
        .value_kind:     hidden_remainder_x
      - .offset:         60
        .size:           2
        .value_kind:     hidden_remainder_y
      - .offset:         62
        .size:           2
        .value_kind:     hidden_remainder_z
      - .offset:         80
        .size:           8
        .value_kind:     hidden_global_offset_x
      - .offset:         88
        .size:           8
        .value_kind:     hidden_global_offset_y
      - .offset:         96
        .size:           8
        .value_kind:     hidden_global_offset_z
      - .offset:         104
        .size:           2
        .value_kind:     hidden_grid_dims
    .group_segment_fixed_size: 256
    .kernarg_segment_align: 8
    .kernarg_segment_size: 296
    .language:       OpenCL C
    .language_version:
      - 2
      - 0
    .max_flat_workgroup_size: 1024
    .name:           _ZN4vllm35silu_and_mul_per_block_quant_kernelIN3c104HalfEaLb0ELi64EEEvPT0_PfPKT_PKfi
    .private_segment_fixed_size: 0
    .sgpr_count:     18
    .sgpr_spill_count: 0
    .symbol:         _ZN4vllm35silu_and_mul_per_block_quant_kernelIN3c104HalfEaLb0ELi64EEEvPT0_PfPKT_PKfi.kd
    .uniform_work_group_size: 1
    .uses_dynamic_stack: false
    .vgpr_count:     9
    .vgpr_spill_count: 0
    .wavefront_size: 32
    .workgroup_processor_mode: 1
  - .args:
      - .actual_access:  write_only
        .address_space:  global
        .offset:         0
        .size:           8
        .value_kind:     global_buffer
      - .actual_access:  write_only
        .address_space:  global
        .offset:         8
        .size:           8
        .value_kind:     global_buffer
      - .actual_access:  read_only
        .address_space:  global
        .offset:         16
        .size:           8
        .value_kind:     global_buffer
      - .address_space:  global
        .offset:         24
        .size:           8
        .value_kind:     global_buffer
      - .offset:         32
        .size:           4
        .value_kind:     by_value
      - .offset:         40
        .size:           4
        .value_kind:     hidden_block_count_x
      - .offset:         44
        .size:           4
        .value_kind:     hidden_block_count_y
      - .offset:         48
        .size:           4
        .value_kind:     hidden_block_count_z
      - .offset:         52
        .size:           2
        .value_kind:     hidden_group_size_x
      - .offset:         54
        .size:           2
        .value_kind:     hidden_group_size_y
      - .offset:         56
        .size:           2
        .value_kind:     hidden_group_size_z
      - .offset:         58
        .size:           2
        .value_kind:     hidden_remainder_x
      - .offset:         60
        .size:           2
        .value_kind:     hidden_remainder_y
      - .offset:         62
        .size:           2
        .value_kind:     hidden_remainder_z
      - .offset:         80
        .size:           8
        .value_kind:     hidden_global_offset_x
      - .offset:         88
        .size:           8
        .value_kind:     hidden_global_offset_y
      - .offset:         96
        .size:           8
        .value_kind:     hidden_global_offset_z
      - .offset:         104
        .size:           2
        .value_kind:     hidden_grid_dims
    .group_segment_fixed_size: 512
    .kernarg_segment_align: 8
    .kernarg_segment_size: 296
    .language:       OpenCL C
    .language_version:
      - 2
      - 0
    .max_flat_workgroup_size: 1024
    .name:           _ZN4vllm35silu_and_mul_per_block_quant_kernelIN3c108BFloat16ENS1_13Float8_e4m3fnELb1ELi128EEEvPT0_PfPKT_PKfi
    .private_segment_fixed_size: 0
    .sgpr_count:     18
    .sgpr_spill_count: 0
    .symbol:         _ZN4vllm35silu_and_mul_per_block_quant_kernelIN3c108BFloat16ENS1_13Float8_e4m3fnELb1ELi128EEEvPT0_PfPKT_PKfi.kd
    .uniform_work_group_size: 1
    .uses_dynamic_stack: false
    .vgpr_count:     9
    .vgpr_spill_count: 0
    .wavefront_size: 32
    .workgroup_processor_mode: 1
  - .args:
      - .actual_access:  write_only
        .address_space:  global
        .offset:         0
        .size:           8
        .value_kind:     global_buffer
      - .actual_access:  write_only
        .address_space:  global
        .offset:         8
        .size:           8
        .value_kind:     global_buffer
      - .actual_access:  read_only
        .address_space:  global
        .offset:         16
        .size:           8
        .value_kind:     global_buffer
      - .address_space:  global
        .offset:         24
        .size:           8
        .value_kind:     global_buffer
      - .offset:         32
        .size:           4
        .value_kind:     by_value
      - .offset:         40
        .size:           4
        .value_kind:     hidden_block_count_x
      - .offset:         44
        .size:           4
        .value_kind:     hidden_block_count_y
      - .offset:         48
        .size:           4
        .value_kind:     hidden_block_count_z
      - .offset:         52
        .size:           2
        .value_kind:     hidden_group_size_x
      - .offset:         54
        .size:           2
        .value_kind:     hidden_group_size_y
      - .offset:         56
        .size:           2
        .value_kind:     hidden_group_size_z
      - .offset:         58
        .size:           2
        .value_kind:     hidden_remainder_x
      - .offset:         60
        .size:           2
        .value_kind:     hidden_remainder_y
      - .offset:         62
        .size:           2
        .value_kind:     hidden_remainder_z
      - .offset:         80
        .size:           8
        .value_kind:     hidden_global_offset_x
      - .offset:         88
        .size:           8
        .value_kind:     hidden_global_offset_y
      - .offset:         96
        .size:           8
        .value_kind:     hidden_global_offset_z
      - .offset:         104
        .size:           2
        .value_kind:     hidden_grid_dims
    .group_segment_fixed_size: 512
    .kernarg_segment_align: 8
    .kernarg_segment_size: 296
    .language:       OpenCL C
    .language_version:
      - 2
      - 0
    .max_flat_workgroup_size: 1024
    .name:           _ZN4vllm35silu_and_mul_per_block_quant_kernelIN3c108BFloat16ENS1_13Float8_e4m3fnELb0ELi128EEEvPT0_PfPKT_PKfi
    .private_segment_fixed_size: 0
    .sgpr_count:     18
    .sgpr_spill_count: 0
    .symbol:         _ZN4vllm35silu_and_mul_per_block_quant_kernelIN3c108BFloat16ENS1_13Float8_e4m3fnELb0ELi128EEEvPT0_PfPKT_PKfi.kd
    .uniform_work_group_size: 1
    .uses_dynamic_stack: false
    .vgpr_count:     9
    .vgpr_spill_count: 0
    .wavefront_size: 32
    .workgroup_processor_mode: 1
  - .args:
      - .actual_access:  write_only
        .address_space:  global
        .offset:         0
        .size:           8
        .value_kind:     global_buffer
      - .actual_access:  write_only
        .address_space:  global
        .offset:         8
        .size:           8
        .value_kind:     global_buffer
      - .actual_access:  read_only
        .address_space:  global
        .offset:         16
        .size:           8
        .value_kind:     global_buffer
      - .address_space:  global
        .offset:         24
        .size:           8
        .value_kind:     global_buffer
      - .offset:         32
        .size:           4
        .value_kind:     by_value
      - .offset:         40
        .size:           4
        .value_kind:     hidden_block_count_x
      - .offset:         44
        .size:           4
        .value_kind:     hidden_block_count_y
      - .offset:         48
        .size:           4
        .value_kind:     hidden_block_count_z
      - .offset:         52
        .size:           2
        .value_kind:     hidden_group_size_x
      - .offset:         54
        .size:           2
        .value_kind:     hidden_group_size_y
      - .offset:         56
        .size:           2
        .value_kind:     hidden_group_size_z
      - .offset:         58
        .size:           2
        .value_kind:     hidden_remainder_x
      - .offset:         60
        .size:           2
        .value_kind:     hidden_remainder_y
      - .offset:         62
        .size:           2
        .value_kind:     hidden_remainder_z
      - .offset:         80
        .size:           8
        .value_kind:     hidden_global_offset_x
      - .offset:         88
        .size:           8
        .value_kind:     hidden_global_offset_y
      - .offset:         96
        .size:           8
        .value_kind:     hidden_global_offset_z
      - .offset:         104
        .size:           2
        .value_kind:     hidden_grid_dims
    .group_segment_fixed_size: 256
    .kernarg_segment_align: 8
    .kernarg_segment_size: 296
    .language:       OpenCL C
    .language_version:
      - 2
      - 0
    .max_flat_workgroup_size: 1024
    .name:           _ZN4vllm35silu_and_mul_per_block_quant_kernelIN3c108BFloat16ENS1_13Float8_e4m3fnELb1ELi64EEEvPT0_PfPKT_PKfi
    .private_segment_fixed_size: 0
    .sgpr_count:     18
    .sgpr_spill_count: 0
    .symbol:         _ZN4vllm35silu_and_mul_per_block_quant_kernelIN3c108BFloat16ENS1_13Float8_e4m3fnELb1ELi64EEEvPT0_PfPKT_PKfi.kd
    .uniform_work_group_size: 1
    .uses_dynamic_stack: false
    .vgpr_count:     9
    .vgpr_spill_count: 0
    .wavefront_size: 32
    .workgroup_processor_mode: 1
  - .args:
      - .actual_access:  write_only
        .address_space:  global
        .offset:         0
        .size:           8
        .value_kind:     global_buffer
      - .actual_access:  write_only
        .address_space:  global
        .offset:         8
        .size:           8
        .value_kind:     global_buffer
      - .actual_access:  read_only
        .address_space:  global
        .offset:         16
        .size:           8
        .value_kind:     global_buffer
      - .address_space:  global
        .offset:         24
        .size:           8
        .value_kind:     global_buffer
      - .offset:         32
        .size:           4
        .value_kind:     by_value
      - .offset:         40
        .size:           4
        .value_kind:     hidden_block_count_x
      - .offset:         44
        .size:           4
        .value_kind:     hidden_block_count_y
      - .offset:         48
        .size:           4
        .value_kind:     hidden_block_count_z
      - .offset:         52
        .size:           2
        .value_kind:     hidden_group_size_x
      - .offset:         54
        .size:           2
        .value_kind:     hidden_group_size_y
      - .offset:         56
        .size:           2
        .value_kind:     hidden_group_size_z
      - .offset:         58
        .size:           2
        .value_kind:     hidden_remainder_x
      - .offset:         60
        .size:           2
        .value_kind:     hidden_remainder_y
      - .offset:         62
        .size:           2
        .value_kind:     hidden_remainder_z
      - .offset:         80
        .size:           8
        .value_kind:     hidden_global_offset_x
      - .offset:         88
        .size:           8
        .value_kind:     hidden_global_offset_y
      - .offset:         96
        .size:           8
        .value_kind:     hidden_global_offset_z
      - .offset:         104
        .size:           2
        .value_kind:     hidden_grid_dims
    .group_segment_fixed_size: 256
    .kernarg_segment_align: 8
    .kernarg_segment_size: 296
    .language:       OpenCL C
    .language_version:
      - 2
      - 0
    .max_flat_workgroup_size: 1024
    .name:           _ZN4vllm35silu_and_mul_per_block_quant_kernelIN3c108BFloat16ENS1_13Float8_e4m3fnELb0ELi64EEEvPT0_PfPKT_PKfi
    .private_segment_fixed_size: 0
    .sgpr_count:     18
    .sgpr_spill_count: 0
    .symbol:         _ZN4vllm35silu_and_mul_per_block_quant_kernelIN3c108BFloat16ENS1_13Float8_e4m3fnELb0ELi64EEEvPT0_PfPKT_PKfi.kd
    .uniform_work_group_size: 1
    .uses_dynamic_stack: false
    .vgpr_count:     9
    .vgpr_spill_count: 0
    .wavefront_size: 32
    .workgroup_processor_mode: 1
  - .args:
      - .actual_access:  write_only
        .address_space:  global
        .offset:         0
        .size:           8
        .value_kind:     global_buffer
      - .actual_access:  write_only
        .address_space:  global
        .offset:         8
        .size:           8
        .value_kind:     global_buffer
      - .actual_access:  read_only
        .address_space:  global
        .offset:         16
        .size:           8
        .value_kind:     global_buffer
      - .address_space:  global
        .offset:         24
        .size:           8
        .value_kind:     global_buffer
      - .offset:         32
        .size:           4
        .value_kind:     by_value
      - .offset:         40
        .size:           4
        .value_kind:     hidden_block_count_x
      - .offset:         44
        .size:           4
        .value_kind:     hidden_block_count_y
      - .offset:         48
        .size:           4
        .value_kind:     hidden_block_count_z
      - .offset:         52
        .size:           2
        .value_kind:     hidden_group_size_x
      - .offset:         54
        .size:           2
        .value_kind:     hidden_group_size_y
      - .offset:         56
        .size:           2
        .value_kind:     hidden_group_size_z
      - .offset:         58
        .size:           2
        .value_kind:     hidden_remainder_x
      - .offset:         60
        .size:           2
        .value_kind:     hidden_remainder_y
      - .offset:         62
        .size:           2
        .value_kind:     hidden_remainder_z
      - .offset:         80
        .size:           8
        .value_kind:     hidden_global_offset_x
      - .offset:         88
        .size:           8
        .value_kind:     hidden_global_offset_y
      - .offset:         96
        .size:           8
        .value_kind:     hidden_global_offset_z
      - .offset:         104
        .size:           2
        .value_kind:     hidden_grid_dims
    .group_segment_fixed_size: 512
    .kernarg_segment_align: 8
    .kernarg_segment_size: 296
    .language:       OpenCL C
    .language_version:
      - 2
      - 0
    .max_flat_workgroup_size: 1024
    .name:           _ZN4vllm35silu_and_mul_per_block_quant_kernelIN3c108BFloat16ENS1_15Float8_e4m3fnuzELb1ELi128EEEvPT0_PfPKT_PKfi
    .private_segment_fixed_size: 0
    .sgpr_count:     18
    .sgpr_spill_count: 0
    .symbol:         _ZN4vllm35silu_and_mul_per_block_quant_kernelIN3c108BFloat16ENS1_15Float8_e4m3fnuzELb1ELi128EEEvPT0_PfPKT_PKfi.kd
    .uniform_work_group_size: 1
    .uses_dynamic_stack: false
    .vgpr_count:     9
    .vgpr_spill_count: 0
    .wavefront_size: 32
    .workgroup_processor_mode: 1
  - .args:
      - .actual_access:  write_only
        .address_space:  global
        .offset:         0
        .size:           8
        .value_kind:     global_buffer
      - .actual_access:  write_only
        .address_space:  global
        .offset:         8
        .size:           8
        .value_kind:     global_buffer
      - .actual_access:  read_only
        .address_space:  global
        .offset:         16
        .size:           8
        .value_kind:     global_buffer
      - .address_space:  global
        .offset:         24
        .size:           8
        .value_kind:     global_buffer
      - .offset:         32
        .size:           4
        .value_kind:     by_value
      - .offset:         40
        .size:           4
        .value_kind:     hidden_block_count_x
      - .offset:         44
        .size:           4
        .value_kind:     hidden_block_count_y
      - .offset:         48
        .size:           4
        .value_kind:     hidden_block_count_z
      - .offset:         52
        .size:           2
        .value_kind:     hidden_group_size_x
      - .offset:         54
        .size:           2
        .value_kind:     hidden_group_size_y
      - .offset:         56
        .size:           2
        .value_kind:     hidden_group_size_z
      - .offset:         58
        .size:           2
        .value_kind:     hidden_remainder_x
      - .offset:         60
        .size:           2
        .value_kind:     hidden_remainder_y
      - .offset:         62
        .size:           2
        .value_kind:     hidden_remainder_z
      - .offset:         80
        .size:           8
        .value_kind:     hidden_global_offset_x
      - .offset:         88
        .size:           8
        .value_kind:     hidden_global_offset_y
      - .offset:         96
        .size:           8
        .value_kind:     hidden_global_offset_z
      - .offset:         104
        .size:           2
        .value_kind:     hidden_grid_dims
    .group_segment_fixed_size: 512
    .kernarg_segment_align: 8
    .kernarg_segment_size: 296
    .language:       OpenCL C
    .language_version:
      - 2
      - 0
    .max_flat_workgroup_size: 1024
    .name:           _ZN4vllm35silu_and_mul_per_block_quant_kernelIN3c108BFloat16ENS1_15Float8_e4m3fnuzELb0ELi128EEEvPT0_PfPKT_PKfi
    .private_segment_fixed_size: 0
    .sgpr_count:     18
    .sgpr_spill_count: 0
    .symbol:         _ZN4vllm35silu_and_mul_per_block_quant_kernelIN3c108BFloat16ENS1_15Float8_e4m3fnuzELb0ELi128EEEvPT0_PfPKT_PKfi.kd
    .uniform_work_group_size: 1
    .uses_dynamic_stack: false
    .vgpr_count:     9
    .vgpr_spill_count: 0
    .wavefront_size: 32
    .workgroup_processor_mode: 1
  - .args:
      - .actual_access:  write_only
        .address_space:  global
        .offset:         0
        .size:           8
        .value_kind:     global_buffer
      - .actual_access:  write_only
        .address_space:  global
        .offset:         8
        .size:           8
        .value_kind:     global_buffer
      - .actual_access:  read_only
        .address_space:  global
        .offset:         16
        .size:           8
        .value_kind:     global_buffer
      - .address_space:  global
        .offset:         24
        .size:           8
        .value_kind:     global_buffer
      - .offset:         32
        .size:           4
        .value_kind:     by_value
      - .offset:         40
        .size:           4
        .value_kind:     hidden_block_count_x
      - .offset:         44
        .size:           4
        .value_kind:     hidden_block_count_y
      - .offset:         48
        .size:           4
        .value_kind:     hidden_block_count_z
      - .offset:         52
        .size:           2
        .value_kind:     hidden_group_size_x
      - .offset:         54
        .size:           2
        .value_kind:     hidden_group_size_y
      - .offset:         56
        .size:           2
        .value_kind:     hidden_group_size_z
      - .offset:         58
        .size:           2
        .value_kind:     hidden_remainder_x
      - .offset:         60
        .size:           2
        .value_kind:     hidden_remainder_y
      - .offset:         62
        .size:           2
        .value_kind:     hidden_remainder_z
      - .offset:         80
        .size:           8
        .value_kind:     hidden_global_offset_x
      - .offset:         88
        .size:           8
        .value_kind:     hidden_global_offset_y
      - .offset:         96
        .size:           8
        .value_kind:     hidden_global_offset_z
      - .offset:         104
        .size:           2
        .value_kind:     hidden_grid_dims
    .group_segment_fixed_size: 256
    .kernarg_segment_align: 8
    .kernarg_segment_size: 296
    .language:       OpenCL C
    .language_version:
      - 2
      - 0
    .max_flat_workgroup_size: 1024
    .name:           _ZN4vllm35silu_and_mul_per_block_quant_kernelIN3c108BFloat16ENS1_15Float8_e4m3fnuzELb1ELi64EEEvPT0_PfPKT_PKfi
    .private_segment_fixed_size: 0
    .sgpr_count:     18
    .sgpr_spill_count: 0
    .symbol:         _ZN4vllm35silu_and_mul_per_block_quant_kernelIN3c108BFloat16ENS1_15Float8_e4m3fnuzELb1ELi64EEEvPT0_PfPKT_PKfi.kd
    .uniform_work_group_size: 1
    .uses_dynamic_stack: false
    .vgpr_count:     9
    .vgpr_spill_count: 0
    .wavefront_size: 32
    .workgroup_processor_mode: 1
  - .args:
      - .actual_access:  write_only
        .address_space:  global
        .offset:         0
        .size:           8
        .value_kind:     global_buffer
      - .actual_access:  write_only
        .address_space:  global
        .offset:         8
        .size:           8
        .value_kind:     global_buffer
      - .actual_access:  read_only
        .address_space:  global
        .offset:         16
        .size:           8
        .value_kind:     global_buffer
      - .address_space:  global
        .offset:         24
        .size:           8
        .value_kind:     global_buffer
      - .offset:         32
        .size:           4
        .value_kind:     by_value
      - .offset:         40
        .size:           4
        .value_kind:     hidden_block_count_x
      - .offset:         44
        .size:           4
        .value_kind:     hidden_block_count_y
      - .offset:         48
        .size:           4
        .value_kind:     hidden_block_count_z
      - .offset:         52
        .size:           2
        .value_kind:     hidden_group_size_x
      - .offset:         54
        .size:           2
        .value_kind:     hidden_group_size_y
      - .offset:         56
        .size:           2
        .value_kind:     hidden_group_size_z
      - .offset:         58
        .size:           2
        .value_kind:     hidden_remainder_x
      - .offset:         60
        .size:           2
        .value_kind:     hidden_remainder_y
      - .offset:         62
        .size:           2
        .value_kind:     hidden_remainder_z
      - .offset:         80
        .size:           8
        .value_kind:     hidden_global_offset_x
      - .offset:         88
        .size:           8
        .value_kind:     hidden_global_offset_y
      - .offset:         96
        .size:           8
        .value_kind:     hidden_global_offset_z
      - .offset:         104
        .size:           2
        .value_kind:     hidden_grid_dims
    .group_segment_fixed_size: 256
    .kernarg_segment_align: 8
    .kernarg_segment_size: 296
    .language:       OpenCL C
    .language_version:
      - 2
      - 0
    .max_flat_workgroup_size: 1024
    .name:           _ZN4vllm35silu_and_mul_per_block_quant_kernelIN3c108BFloat16ENS1_15Float8_e4m3fnuzELb0ELi64EEEvPT0_PfPKT_PKfi
    .private_segment_fixed_size: 0
    .sgpr_count:     18
    .sgpr_spill_count: 0
    .symbol:         _ZN4vllm35silu_and_mul_per_block_quant_kernelIN3c108BFloat16ENS1_15Float8_e4m3fnuzELb0ELi64EEEvPT0_PfPKT_PKfi.kd
    .uniform_work_group_size: 1
    .uses_dynamic_stack: false
    .vgpr_count:     9
    .vgpr_spill_count: 0
    .wavefront_size: 32
    .workgroup_processor_mode: 1
  - .args:
      - .actual_access:  write_only
        .address_space:  global
        .offset:         0
        .size:           8
        .value_kind:     global_buffer
      - .actual_access:  write_only
        .address_space:  global
        .offset:         8
        .size:           8
        .value_kind:     global_buffer
      - .actual_access:  read_only
        .address_space:  global
        .offset:         16
        .size:           8
        .value_kind:     global_buffer
      - .address_space:  global
        .offset:         24
        .size:           8
        .value_kind:     global_buffer
      - .offset:         32
        .size:           4
        .value_kind:     by_value
      - .offset:         40
        .size:           4
        .value_kind:     hidden_block_count_x
      - .offset:         44
        .size:           4
        .value_kind:     hidden_block_count_y
      - .offset:         48
        .size:           4
        .value_kind:     hidden_block_count_z
      - .offset:         52
        .size:           2
        .value_kind:     hidden_group_size_x
      - .offset:         54
        .size:           2
        .value_kind:     hidden_group_size_y
      - .offset:         56
        .size:           2
        .value_kind:     hidden_group_size_z
      - .offset:         58
        .size:           2
        .value_kind:     hidden_remainder_x
      - .offset:         60
        .size:           2
        .value_kind:     hidden_remainder_y
      - .offset:         62
        .size:           2
        .value_kind:     hidden_remainder_z
      - .offset:         80
        .size:           8
        .value_kind:     hidden_global_offset_x
      - .offset:         88
        .size:           8
        .value_kind:     hidden_global_offset_y
      - .offset:         96
        .size:           8
        .value_kind:     hidden_global_offset_z
      - .offset:         104
        .size:           2
        .value_kind:     hidden_grid_dims
    .group_segment_fixed_size: 512
    .kernarg_segment_align: 8
    .kernarg_segment_size: 296
    .language:       OpenCL C
    .language_version:
      - 2
      - 0
    .max_flat_workgroup_size: 1024
    .name:           _ZN4vllm35silu_and_mul_per_block_quant_kernelIN3c108BFloat16EaLb1ELi128EEEvPT0_PfPKT_PKfi
    .private_segment_fixed_size: 0
    .sgpr_count:     18
    .sgpr_spill_count: 0
    .symbol:         _ZN4vllm35silu_and_mul_per_block_quant_kernelIN3c108BFloat16EaLb1ELi128EEEvPT0_PfPKT_PKfi.kd
    .uniform_work_group_size: 1
    .uses_dynamic_stack: false
    .vgpr_count:     9
    .vgpr_spill_count: 0
    .wavefront_size: 32
    .workgroup_processor_mode: 1
  - .args:
      - .actual_access:  write_only
        .address_space:  global
        .offset:         0
        .size:           8
        .value_kind:     global_buffer
      - .actual_access:  write_only
        .address_space:  global
        .offset:         8
        .size:           8
        .value_kind:     global_buffer
      - .actual_access:  read_only
        .address_space:  global
        .offset:         16
        .size:           8
        .value_kind:     global_buffer
      - .address_space:  global
        .offset:         24
        .size:           8
        .value_kind:     global_buffer
      - .offset:         32
        .size:           4
        .value_kind:     by_value
      - .offset:         40
        .size:           4
        .value_kind:     hidden_block_count_x
      - .offset:         44
        .size:           4
        .value_kind:     hidden_block_count_y
      - .offset:         48
        .size:           4
        .value_kind:     hidden_block_count_z
      - .offset:         52
        .size:           2
        .value_kind:     hidden_group_size_x
      - .offset:         54
        .size:           2
        .value_kind:     hidden_group_size_y
      - .offset:         56
        .size:           2
        .value_kind:     hidden_group_size_z
      - .offset:         58
        .size:           2
        .value_kind:     hidden_remainder_x
      - .offset:         60
        .size:           2
        .value_kind:     hidden_remainder_y
      - .offset:         62
        .size:           2
        .value_kind:     hidden_remainder_z
      - .offset:         80
        .size:           8
        .value_kind:     hidden_global_offset_x
      - .offset:         88
        .size:           8
        .value_kind:     hidden_global_offset_y
      - .offset:         96
        .size:           8
        .value_kind:     hidden_global_offset_z
      - .offset:         104
        .size:           2
        .value_kind:     hidden_grid_dims
    .group_segment_fixed_size: 512
    .kernarg_segment_align: 8
    .kernarg_segment_size: 296
    .language:       OpenCL C
    .language_version:
      - 2
      - 0
    .max_flat_workgroup_size: 1024
    .name:           _ZN4vllm35silu_and_mul_per_block_quant_kernelIN3c108BFloat16EaLb0ELi128EEEvPT0_PfPKT_PKfi
    .private_segment_fixed_size: 0
    .sgpr_count:     18
    .sgpr_spill_count: 0
    .symbol:         _ZN4vllm35silu_and_mul_per_block_quant_kernelIN3c108BFloat16EaLb0ELi128EEEvPT0_PfPKT_PKfi.kd
    .uniform_work_group_size: 1
    .uses_dynamic_stack: false
    .vgpr_count:     9
    .vgpr_spill_count: 0
    .wavefront_size: 32
    .workgroup_processor_mode: 1
  - .args:
      - .actual_access:  write_only
        .address_space:  global
        .offset:         0
        .size:           8
        .value_kind:     global_buffer
      - .actual_access:  write_only
        .address_space:  global
        .offset:         8
        .size:           8
        .value_kind:     global_buffer
      - .actual_access:  read_only
        .address_space:  global
        .offset:         16
        .size:           8
        .value_kind:     global_buffer
      - .address_space:  global
        .offset:         24
        .size:           8
        .value_kind:     global_buffer
      - .offset:         32
        .size:           4
        .value_kind:     by_value
      - .offset:         40
        .size:           4
        .value_kind:     hidden_block_count_x
      - .offset:         44
        .size:           4
        .value_kind:     hidden_block_count_y
      - .offset:         48
        .size:           4
        .value_kind:     hidden_block_count_z
      - .offset:         52
        .size:           2
        .value_kind:     hidden_group_size_x
      - .offset:         54
        .size:           2
        .value_kind:     hidden_group_size_y
      - .offset:         56
        .size:           2
        .value_kind:     hidden_group_size_z
      - .offset:         58
        .size:           2
        .value_kind:     hidden_remainder_x
      - .offset:         60
        .size:           2
        .value_kind:     hidden_remainder_y
      - .offset:         62
        .size:           2
        .value_kind:     hidden_remainder_z
      - .offset:         80
        .size:           8
        .value_kind:     hidden_global_offset_x
      - .offset:         88
        .size:           8
        .value_kind:     hidden_global_offset_y
      - .offset:         96
        .size:           8
        .value_kind:     hidden_global_offset_z
      - .offset:         104
        .size:           2
        .value_kind:     hidden_grid_dims
    .group_segment_fixed_size: 256
    .kernarg_segment_align: 8
    .kernarg_segment_size: 296
    .language:       OpenCL C
    .language_version:
      - 2
      - 0
    .max_flat_workgroup_size: 1024
    .name:           _ZN4vllm35silu_and_mul_per_block_quant_kernelIN3c108BFloat16EaLb1ELi64EEEvPT0_PfPKT_PKfi
    .private_segment_fixed_size: 0
    .sgpr_count:     18
    .sgpr_spill_count: 0
    .symbol:         _ZN4vllm35silu_and_mul_per_block_quant_kernelIN3c108BFloat16EaLb1ELi64EEEvPT0_PfPKT_PKfi.kd
    .uniform_work_group_size: 1
    .uses_dynamic_stack: false
    .vgpr_count:     9
    .vgpr_spill_count: 0
    .wavefront_size: 32
    .workgroup_processor_mode: 1
  - .args:
      - .actual_access:  write_only
        .address_space:  global
        .offset:         0
        .size:           8
        .value_kind:     global_buffer
      - .actual_access:  write_only
        .address_space:  global
        .offset:         8
        .size:           8
        .value_kind:     global_buffer
      - .actual_access:  read_only
        .address_space:  global
        .offset:         16
        .size:           8
        .value_kind:     global_buffer
      - .address_space:  global
        .offset:         24
        .size:           8
        .value_kind:     global_buffer
      - .offset:         32
        .size:           4
        .value_kind:     by_value
      - .offset:         40
        .size:           4
        .value_kind:     hidden_block_count_x
      - .offset:         44
        .size:           4
        .value_kind:     hidden_block_count_y
      - .offset:         48
        .size:           4
        .value_kind:     hidden_block_count_z
      - .offset:         52
        .size:           2
        .value_kind:     hidden_group_size_x
      - .offset:         54
        .size:           2
        .value_kind:     hidden_group_size_y
      - .offset:         56
        .size:           2
        .value_kind:     hidden_group_size_z
      - .offset:         58
        .size:           2
        .value_kind:     hidden_remainder_x
      - .offset:         60
        .size:           2
        .value_kind:     hidden_remainder_y
      - .offset:         62
        .size:           2
        .value_kind:     hidden_remainder_z
      - .offset:         80
        .size:           8
        .value_kind:     hidden_global_offset_x
      - .offset:         88
        .size:           8
        .value_kind:     hidden_global_offset_y
      - .offset:         96
        .size:           8
        .value_kind:     hidden_global_offset_z
      - .offset:         104
        .size:           2
        .value_kind:     hidden_grid_dims
    .group_segment_fixed_size: 256
    .kernarg_segment_align: 8
    .kernarg_segment_size: 296
    .language:       OpenCL C
    .language_version:
      - 2
      - 0
    .max_flat_workgroup_size: 1024
    .name:           _ZN4vllm35silu_and_mul_per_block_quant_kernelIN3c108BFloat16EaLb0ELi64EEEvPT0_PfPKT_PKfi
    .private_segment_fixed_size: 0
    .sgpr_count:     18
    .sgpr_spill_count: 0
    .symbol:         _ZN4vllm35silu_and_mul_per_block_quant_kernelIN3c108BFloat16EaLb0ELi64EEEvPT0_PfPKT_PKfi.kd
    .uniform_work_group_size: 1
    .uses_dynamic_stack: false
    .vgpr_count:     9
    .vgpr_spill_count: 0
    .wavefront_size: 32
    .workgroup_processor_mode: 1
amdhsa.target:   amdgcn-amd-amdhsa--gfx1100
amdhsa.version:
  - 1
  - 2
...

	.end_amdgpu_metadata
